;; amdgpu-corpus repo=LLNL/RAJAPerf kind=compiled arch=gfx906 opt=O3
	.amdgcn_target "amdgcn-amd-amdhsa--gfx906"
	.amdhsa_code_object_version 6
	.section	.text._ZN8rajaperf4comm23halo_packing_fused_packILm1024EEEvPPdPPiS3_Pl,"axG",@progbits,_ZN8rajaperf4comm23halo_packing_fused_packILm1024EEEvPPdPPiS3_Pl,comdat
	.protected	_ZN8rajaperf4comm23halo_packing_fused_packILm1024EEEvPPdPPiS3_Pl ; -- Begin function _ZN8rajaperf4comm23halo_packing_fused_packILm1024EEEvPPdPPiS3_Pl
	.globl	_ZN8rajaperf4comm23halo_packing_fused_packILm1024EEEvPPdPPiS3_Pl
	.p2align	8
	.type	_ZN8rajaperf4comm23halo_packing_fused_packILm1024EEEvPPdPPiS3_Pl,@function
_ZN8rajaperf4comm23halo_packing_fused_packILm1024EEEvPPdPPiS3_Pl: ; @_ZN8rajaperf4comm23halo_packing_fused_packILm1024EEEvPPdPPiS3_Pl
; %bb.0:
	s_load_dwordx8 s[8:15], s[4:5], 0x0
	s_mov_b32 s16, s7
	s_mov_b32 s17, 0
	s_lshl_b64 s[2:3], s[16:17], 3
	s_mov_b32 s16, s6
	s_waitcnt lgkmcnt(0)
	s_add_u32 s0, s14, s2
	s_addc_u32 s1, s15, s3
	s_load_dwordx2 s[0:1], s[0:1], 0x0
	s_lshl_b64 s[6:7], s[16:17], 10
	v_or_b32_e32 v1, s6, v0
	v_mov_b32_e32 v2, s7
	s_waitcnt lgkmcnt(0)
	v_cmp_gt_i64_e32 vcc, s[0:1], v[1:2]
	s_and_saveexec_b64 s[6:7], vcc
	s_cbranch_execz .LBB0_3
; %bb.1:
	s_add_u32 s6, s8, s2
	s_addc_u32 s7, s9, s3
	s_add_u32 s8, s10, s2
	s_addc_u32 s9, s11, s3
	s_load_dwordx2 s[6:7], s[6:7], 0x0
	s_nop 0
	s_load_dwordx2 s[10:11], s[8:9], 0x0
	s_load_dword s14, s[4:5], 0x20
	s_add_u32 s2, s12, s2
	s_mov_b32 s15, s17
	s_addc_u32 s3, s13, s3
	s_lshl_b64 s[8:9], s[16:17], 13
	s_waitcnt lgkmcnt(0)
	s_lshl_b64 s[4:5], s[14:15], 10
	s_add_u32 s6, s6, s8
	s_load_dwordx2 s[2:3], s[2:3], 0x0
	v_lshlrev_b32_e32 v3, 3, v0
	s_addc_u32 s7, s7, s9
	v_mov_b32_e32 v4, s7
	v_add_co_u32_e32 v3, vcc, s6, v3
	s_lshl_b64 s[6:7], s[14:15], 13
	s_lshl_b64 s[8:9], s[16:17], 12
	s_add_u32 s8, s10, s8
	v_addc_co_u32_e32 v4, vcc, 0, v4, vcc
	v_lshlrev_b32_e32 v0, 2, v0
	s_addc_u32 s9, s11, s9
	v_mov_b32_e32 v6, s9
	v_add_co_u32_e32 v5, vcc, s8, v0
	s_lshl_b64 s[8:9], s[14:15], 12
	v_addc_co_u32_e32 v6, vcc, 0, v6, vcc
	s_mov_b64 s[10:11], 0
	s_waitcnt lgkmcnt(0)
	v_mov_b32_e32 v0, s3
	v_mov_b32_e32 v7, s5
	;; [unrolled: 1-line block ×4, first 2 shown]
.LBB0_2:                                ; =>This Inner Loop Header: Depth=1
	flat_load_dword v10, v[5:6]
	s_waitcnt vmcnt(0) lgkmcnt(0)
	v_ashrrev_i32_e32 v11, 31, v10
	v_lshlrev_b64 v[10:11], 3, v[10:11]
	v_add_co_u32_e32 v10, vcc, s2, v10
	v_addc_co_u32_e32 v11, vcc, v0, v11, vcc
	flat_load_dwordx2 v[10:11], v[10:11]
	v_add_co_u32_e32 v1, vcc, s4, v1
	v_addc_co_u32_e32 v2, vcc, v2, v7, vcc
	v_add_co_u32_e32 v5, vcc, s8, v5
	v_addc_co_u32_e32 v6, vcc, v6, v9, vcc
	v_cmp_le_i64_e32 vcc, s[0:1], v[1:2]
	s_or_b64 s[10:11], vcc, s[10:11]
	s_waitcnt vmcnt(0) lgkmcnt(0)
	flat_store_dwordx2 v[3:4], v[10:11]
	v_add_co_u32_e32 v3, vcc, s6, v3
	v_addc_co_u32_e32 v4, vcc, v4, v8, vcc
	s_andn2_b64 exec, exec, s[10:11]
	s_cbranch_execnz .LBB0_2
.LBB0_3:
	s_endpgm
	.section	.rodata,"a",@progbits
	.p2align	6, 0x0
	.amdhsa_kernel _ZN8rajaperf4comm23halo_packing_fused_packILm1024EEEvPPdPPiS3_Pl
		.amdhsa_group_segment_fixed_size 0
		.amdhsa_private_segment_fixed_size 0
		.amdhsa_kernarg_size 288
		.amdhsa_user_sgpr_count 6
		.amdhsa_user_sgpr_private_segment_buffer 1
		.amdhsa_user_sgpr_dispatch_ptr 0
		.amdhsa_user_sgpr_queue_ptr 0
		.amdhsa_user_sgpr_kernarg_segment_ptr 1
		.amdhsa_user_sgpr_dispatch_id 0
		.amdhsa_user_sgpr_flat_scratch_init 0
		.amdhsa_user_sgpr_private_segment_size 0
		.amdhsa_uses_dynamic_stack 0
		.amdhsa_system_sgpr_private_segment_wavefront_offset 0
		.amdhsa_system_sgpr_workgroup_id_x 1
		.amdhsa_system_sgpr_workgroup_id_y 1
		.amdhsa_system_sgpr_workgroup_id_z 0
		.amdhsa_system_sgpr_workgroup_info 0
		.amdhsa_system_vgpr_workitem_id 0
		.amdhsa_next_free_vgpr 12
		.amdhsa_next_free_sgpr 18
		.amdhsa_reserve_vcc 1
		.amdhsa_reserve_flat_scratch 0
		.amdhsa_float_round_mode_32 0
		.amdhsa_float_round_mode_16_64 0
		.amdhsa_float_denorm_mode_32 3
		.amdhsa_float_denorm_mode_16_64 3
		.amdhsa_dx10_clamp 1
		.amdhsa_ieee_mode 1
		.amdhsa_fp16_overflow 0
		.amdhsa_exception_fp_ieee_invalid_op 0
		.amdhsa_exception_fp_denorm_src 0
		.amdhsa_exception_fp_ieee_div_zero 0
		.amdhsa_exception_fp_ieee_overflow 0
		.amdhsa_exception_fp_ieee_underflow 0
		.amdhsa_exception_fp_ieee_inexact 0
		.amdhsa_exception_int_div_zero 0
	.end_amdhsa_kernel
	.section	.text._ZN8rajaperf4comm23halo_packing_fused_packILm1024EEEvPPdPPiS3_Pl,"axG",@progbits,_ZN8rajaperf4comm23halo_packing_fused_packILm1024EEEvPPdPPiS3_Pl,comdat
.Lfunc_end0:
	.size	_ZN8rajaperf4comm23halo_packing_fused_packILm1024EEEvPPdPPiS3_Pl, .Lfunc_end0-_ZN8rajaperf4comm23halo_packing_fused_packILm1024EEEvPPdPPiS3_Pl
                                        ; -- End function
	.set _ZN8rajaperf4comm23halo_packing_fused_packILm1024EEEvPPdPPiS3_Pl.num_vgpr, 12
	.set _ZN8rajaperf4comm23halo_packing_fused_packILm1024EEEvPPdPPiS3_Pl.num_agpr, 0
	.set _ZN8rajaperf4comm23halo_packing_fused_packILm1024EEEvPPdPPiS3_Pl.numbered_sgpr, 18
	.set _ZN8rajaperf4comm23halo_packing_fused_packILm1024EEEvPPdPPiS3_Pl.num_named_barrier, 0
	.set _ZN8rajaperf4comm23halo_packing_fused_packILm1024EEEvPPdPPiS3_Pl.private_seg_size, 0
	.set _ZN8rajaperf4comm23halo_packing_fused_packILm1024EEEvPPdPPiS3_Pl.uses_vcc, 1
	.set _ZN8rajaperf4comm23halo_packing_fused_packILm1024EEEvPPdPPiS3_Pl.uses_flat_scratch, 0
	.set _ZN8rajaperf4comm23halo_packing_fused_packILm1024EEEvPPdPPiS3_Pl.has_dyn_sized_stack, 0
	.set _ZN8rajaperf4comm23halo_packing_fused_packILm1024EEEvPPdPPiS3_Pl.has_recursion, 0
	.set _ZN8rajaperf4comm23halo_packing_fused_packILm1024EEEvPPdPPiS3_Pl.has_indirect_call, 0
	.section	.AMDGPU.csdata,"",@progbits
; Kernel info:
; codeLenInByte = 328
; TotalNumSgprs: 22
; NumVgprs: 12
; ScratchSize: 0
; MemoryBound: 0
; FloatMode: 240
; IeeeMode: 1
; LDSByteSize: 0 bytes/workgroup (compile time only)
; SGPRBlocks: 2
; VGPRBlocks: 2
; NumSGPRsForWavesPerEU: 22
; NumVGPRsForWavesPerEU: 12
; Occupancy: 10
; WaveLimiterHint : 1
; COMPUTE_PGM_RSRC2:SCRATCH_EN: 0
; COMPUTE_PGM_RSRC2:USER_SGPR: 6
; COMPUTE_PGM_RSRC2:TRAP_HANDLER: 0
; COMPUTE_PGM_RSRC2:TGID_X_EN: 1
; COMPUTE_PGM_RSRC2:TGID_Y_EN: 1
; COMPUTE_PGM_RSRC2:TGID_Z_EN: 0
; COMPUTE_PGM_RSRC2:TIDIG_COMP_CNT: 0
	.section	.text._ZN8rajaperf4comm25halo_packing_fused_unpackILm1024EEEvPPdPPiS3_Pl,"axG",@progbits,_ZN8rajaperf4comm25halo_packing_fused_unpackILm1024EEEvPPdPPiS3_Pl,comdat
	.protected	_ZN8rajaperf4comm25halo_packing_fused_unpackILm1024EEEvPPdPPiS3_Pl ; -- Begin function _ZN8rajaperf4comm25halo_packing_fused_unpackILm1024EEEvPPdPPiS3_Pl
	.globl	_ZN8rajaperf4comm25halo_packing_fused_unpackILm1024EEEvPPdPPiS3_Pl
	.p2align	8
	.type	_ZN8rajaperf4comm25halo_packing_fused_unpackILm1024EEEvPPdPPiS3_Pl,@function
_ZN8rajaperf4comm25halo_packing_fused_unpackILm1024EEEvPPdPPiS3_Pl: ; @_ZN8rajaperf4comm25halo_packing_fused_unpackILm1024EEEvPPdPPiS3_Pl
; %bb.0:
	s_load_dwordx8 s[8:15], s[4:5], 0x0
	s_mov_b32 s16, s7
	s_mov_b32 s17, 0
	s_lshl_b64 s[2:3], s[16:17], 3
	s_mov_b32 s16, s6
	s_waitcnt lgkmcnt(0)
	s_add_u32 s0, s14, s2
	s_addc_u32 s1, s15, s3
	s_load_dwordx2 s[0:1], s[0:1], 0x0
	s_lshl_b64 s[6:7], s[16:17], 10
	v_or_b32_e32 v1, s6, v0
	v_mov_b32_e32 v2, s7
	s_waitcnt lgkmcnt(0)
	v_cmp_gt_i64_e32 vcc, s[0:1], v[1:2]
	s_and_saveexec_b64 s[6:7], vcc
	s_cbranch_execz .LBB1_3
; %bb.1:
	s_add_u32 s6, s8, s2
	s_addc_u32 s7, s9, s3
	s_load_dwordx2 s[8:9], s[6:7], 0x0
	s_add_u32 s6, s10, s2
	s_addc_u32 s7, s11, s3
	s_load_dwordx2 s[10:11], s[6:7], 0x0
	s_load_dword s14, s[4:5], 0x20
	s_add_u32 s2, s12, s2
	s_mov_b32 s15, s17
	s_addc_u32 s3, s13, s3
	s_lshl_b64 s[6:7], s[16:17], 12
	s_waitcnt lgkmcnt(0)
	s_lshl_b64 s[4:5], s[14:15], 10
	s_add_u32 s6, s10, s6
	s_load_dwordx2 s[2:3], s[2:3], 0x0
	v_lshlrev_b32_e32 v3, 2, v0
	s_addc_u32 s7, s11, s7
	v_mov_b32_e32 v4, s7
	v_add_co_u32_e32 v3, vcc, s6, v3
	s_lshl_b64 s[6:7], s[14:15], 12
	s_lshl_b64 s[10:11], s[16:17], 13
	s_add_u32 s8, s8, s10
	v_addc_co_u32_e32 v4, vcc, 0, v4, vcc
	v_lshlrev_b32_e32 v0, 3, v0
	s_addc_u32 s9, s9, s11
	v_mov_b32_e32 v6, s9
	v_add_co_u32_e32 v5, vcc, s8, v0
	s_lshl_b64 s[8:9], s[14:15], 13
	v_addc_co_u32_e32 v6, vcc, 0, v6, vcc
	s_mov_b64 s[10:11], 0
	s_waitcnt lgkmcnt(0)
	v_mov_b32_e32 v0, s3
	v_mov_b32_e32 v7, s5
	;; [unrolled: 1-line block ×4, first 2 shown]
.LBB1_2:                                ; =>This Inner Loop Header: Depth=1
	flat_load_dword v10, v[3:4]
	flat_load_dwordx2 v[12:13], v[5:6]
	v_add_co_u32_e32 v1, vcc, s4, v1
	v_addc_co_u32_e32 v2, vcc, v2, v7, vcc
	v_add_co_u32_e32 v3, vcc, s6, v3
	v_addc_co_u32_e32 v4, vcc, v4, v8, vcc
	;; [unrolled: 2-line block ×3, first 2 shown]
	v_cmp_le_i64_e32 vcc, s[0:1], v[1:2]
	s_or_b64 s[10:11], vcc, s[10:11]
	s_waitcnt vmcnt(0) lgkmcnt(0)
	v_ashrrev_i32_e32 v11, 31, v10
	v_lshlrev_b64 v[10:11], 3, v[10:11]
	v_add_co_u32_e32 v10, vcc, s2, v10
	v_addc_co_u32_e32 v11, vcc, v0, v11, vcc
	flat_store_dwordx2 v[10:11], v[12:13]
	s_andn2_b64 exec, exec, s[10:11]
	s_cbranch_execnz .LBB1_2
.LBB1_3:
	s_endpgm
	.section	.rodata,"a",@progbits
	.p2align	6, 0x0
	.amdhsa_kernel _ZN8rajaperf4comm25halo_packing_fused_unpackILm1024EEEvPPdPPiS3_Pl
		.amdhsa_group_segment_fixed_size 0
		.amdhsa_private_segment_fixed_size 0
		.amdhsa_kernarg_size 288
		.amdhsa_user_sgpr_count 6
		.amdhsa_user_sgpr_private_segment_buffer 1
		.amdhsa_user_sgpr_dispatch_ptr 0
		.amdhsa_user_sgpr_queue_ptr 0
		.amdhsa_user_sgpr_kernarg_segment_ptr 1
		.amdhsa_user_sgpr_dispatch_id 0
		.amdhsa_user_sgpr_flat_scratch_init 0
		.amdhsa_user_sgpr_private_segment_size 0
		.amdhsa_uses_dynamic_stack 0
		.amdhsa_system_sgpr_private_segment_wavefront_offset 0
		.amdhsa_system_sgpr_workgroup_id_x 1
		.amdhsa_system_sgpr_workgroup_id_y 1
		.amdhsa_system_sgpr_workgroup_id_z 0
		.amdhsa_system_sgpr_workgroup_info 0
		.amdhsa_system_vgpr_workitem_id 0
		.amdhsa_next_free_vgpr 14
		.amdhsa_next_free_sgpr 18
		.amdhsa_reserve_vcc 1
		.amdhsa_reserve_flat_scratch 0
		.amdhsa_float_round_mode_32 0
		.amdhsa_float_round_mode_16_64 0
		.amdhsa_float_denorm_mode_32 3
		.amdhsa_float_denorm_mode_16_64 3
		.amdhsa_dx10_clamp 1
		.amdhsa_ieee_mode 1
		.amdhsa_fp16_overflow 0
		.amdhsa_exception_fp_ieee_invalid_op 0
		.amdhsa_exception_fp_denorm_src 0
		.amdhsa_exception_fp_ieee_div_zero 0
		.amdhsa_exception_fp_ieee_overflow 0
		.amdhsa_exception_fp_ieee_underflow 0
		.amdhsa_exception_fp_ieee_inexact 0
		.amdhsa_exception_int_div_zero 0
	.end_amdhsa_kernel
	.section	.text._ZN8rajaperf4comm25halo_packing_fused_unpackILm1024EEEvPPdPPiS3_Pl,"axG",@progbits,_ZN8rajaperf4comm25halo_packing_fused_unpackILm1024EEEvPPdPPiS3_Pl,comdat
.Lfunc_end1:
	.size	_ZN8rajaperf4comm25halo_packing_fused_unpackILm1024EEEvPPdPPiS3_Pl, .Lfunc_end1-_ZN8rajaperf4comm25halo_packing_fused_unpackILm1024EEEvPPdPPiS3_Pl
                                        ; -- End function
	.set _ZN8rajaperf4comm25halo_packing_fused_unpackILm1024EEEvPPdPPiS3_Pl.num_vgpr, 14
	.set _ZN8rajaperf4comm25halo_packing_fused_unpackILm1024EEEvPPdPPiS3_Pl.num_agpr, 0
	.set _ZN8rajaperf4comm25halo_packing_fused_unpackILm1024EEEvPPdPPiS3_Pl.numbered_sgpr, 18
	.set _ZN8rajaperf4comm25halo_packing_fused_unpackILm1024EEEvPPdPPiS3_Pl.num_named_barrier, 0
	.set _ZN8rajaperf4comm25halo_packing_fused_unpackILm1024EEEvPPdPPiS3_Pl.private_seg_size, 0
	.set _ZN8rajaperf4comm25halo_packing_fused_unpackILm1024EEEvPPdPPiS3_Pl.uses_vcc, 1
	.set _ZN8rajaperf4comm25halo_packing_fused_unpackILm1024EEEvPPdPPiS3_Pl.uses_flat_scratch, 0
	.set _ZN8rajaperf4comm25halo_packing_fused_unpackILm1024EEEvPPdPPiS3_Pl.has_dyn_sized_stack, 0
	.set _ZN8rajaperf4comm25halo_packing_fused_unpackILm1024EEEvPPdPPiS3_Pl.has_recursion, 0
	.set _ZN8rajaperf4comm25halo_packing_fused_unpackILm1024EEEvPPdPPiS3_Pl.has_indirect_call, 0
	.section	.AMDGPU.csdata,"",@progbits
; Kernel info:
; codeLenInByte = 320
; TotalNumSgprs: 22
; NumVgprs: 14
; ScratchSize: 0
; MemoryBound: 0
; FloatMode: 240
; IeeeMode: 1
; LDSByteSize: 0 bytes/workgroup (compile time only)
; SGPRBlocks: 2
; VGPRBlocks: 3
; NumSGPRsForWavesPerEU: 22
; NumVGPRsForWavesPerEU: 14
; Occupancy: 10
; WaveLimiterHint : 1
; COMPUTE_PGM_RSRC2:SCRATCH_EN: 0
; COMPUTE_PGM_RSRC2:USER_SGPR: 6
; COMPUTE_PGM_RSRC2:TRAP_HANDLER: 0
; COMPUTE_PGM_RSRC2:TGID_X_EN: 1
; COMPUTE_PGM_RSRC2:TGID_Y_EN: 1
; COMPUTE_PGM_RSRC2:TGID_Z_EN: 0
; COMPUTE_PGM_RSRC2:TIDIG_COMP_CNT: 0
	.section	.text._ZN4RAJA6detail28hip_unordered_y_block_globalILm1024ENS0_22random_access_iteratorINS0_11WorkStorageINS_6policy9workgroup32constant_stride_array_of_objectsEN8rajaperf23RAJAPoolAllocatorHolderINS_13basic_mempool7MemPoolINS_3hip15PinnedAllocatorEEEE9AllocatorIcEENS0_10DispatcherILN4camp9resources2v18PlatformE8ENS5_15direct_dispatchIJNS0_29HoldHipDeviceXThreadblockLoopINS_17TypedRangeSegmentIllEENS7_4comm9HALO_base6PackerElJEEENSN_ISP_NSR_8UnPackerElJEEEEEENS4_3hip8hip_workILm1024ELb1EEEJEEEE19const_iterator_baseEEENS0_10WorkStructILm16ES10_EElJEEEvT0_DpT3_,"axG",@progbits,_ZN4RAJA6detail28hip_unordered_y_block_globalILm1024ENS0_22random_access_iteratorINS0_11WorkStorageINS_6policy9workgroup32constant_stride_array_of_objectsEN8rajaperf23RAJAPoolAllocatorHolderINS_13basic_mempool7MemPoolINS_3hip15PinnedAllocatorEEEE9AllocatorIcEENS0_10DispatcherILN4camp9resources2v18PlatformE8ENS5_15direct_dispatchIJNS0_29HoldHipDeviceXThreadblockLoopINS_17TypedRangeSegmentIllEENS7_4comm9HALO_base6PackerElJEEENSN_ISP_NSR_8UnPackerElJEEEEEENS4_3hip8hip_workILm1024ELb1EEEJEEEE19const_iterator_baseEEENS0_10WorkStructILm16ES10_EElJEEEvT0_DpT3_,comdat
	.protected	_ZN4RAJA6detail28hip_unordered_y_block_globalILm1024ENS0_22random_access_iteratorINS0_11WorkStorageINS_6policy9workgroup32constant_stride_array_of_objectsEN8rajaperf23RAJAPoolAllocatorHolderINS_13basic_mempool7MemPoolINS_3hip15PinnedAllocatorEEEE9AllocatorIcEENS0_10DispatcherILN4camp9resources2v18PlatformE8ENS5_15direct_dispatchIJNS0_29HoldHipDeviceXThreadblockLoopINS_17TypedRangeSegmentIllEENS7_4comm9HALO_base6PackerElJEEENSN_ISP_NSR_8UnPackerElJEEEEEENS4_3hip8hip_workILm1024ELb1EEEJEEEE19const_iterator_baseEEENS0_10WorkStructILm16ES10_EElJEEEvT0_DpT3_ ; -- Begin function _ZN4RAJA6detail28hip_unordered_y_block_globalILm1024ENS0_22random_access_iteratorINS0_11WorkStorageINS_6policy9workgroup32constant_stride_array_of_objectsEN8rajaperf23RAJAPoolAllocatorHolderINS_13basic_mempool7MemPoolINS_3hip15PinnedAllocatorEEEE9AllocatorIcEENS0_10DispatcherILN4camp9resources2v18PlatformE8ENS5_15direct_dispatchIJNS0_29HoldHipDeviceXThreadblockLoopINS_17TypedRangeSegmentIllEENS7_4comm9HALO_base6PackerElJEEENSN_ISP_NSR_8UnPackerElJEEEEEENS4_3hip8hip_workILm1024ELb1EEEJEEEE19const_iterator_baseEEENS0_10WorkStructILm16ES10_EElJEEEvT0_DpT3_
	.globl	_ZN4RAJA6detail28hip_unordered_y_block_globalILm1024ENS0_22random_access_iteratorINS0_11WorkStorageINS_6policy9workgroup32constant_stride_array_of_objectsEN8rajaperf23RAJAPoolAllocatorHolderINS_13basic_mempool7MemPoolINS_3hip15PinnedAllocatorEEEE9AllocatorIcEENS0_10DispatcherILN4camp9resources2v18PlatformE8ENS5_15direct_dispatchIJNS0_29HoldHipDeviceXThreadblockLoopINS_17TypedRangeSegmentIllEENS7_4comm9HALO_base6PackerElJEEENSN_ISP_NSR_8UnPackerElJEEEEEENS4_3hip8hip_workILm1024ELb1EEEJEEEE19const_iterator_baseEEENS0_10WorkStructILm16ES10_EElJEEEvT0_DpT3_
	.p2align	8
	.type	_ZN4RAJA6detail28hip_unordered_y_block_globalILm1024ENS0_22random_access_iteratorINS0_11WorkStorageINS_6policy9workgroup32constant_stride_array_of_objectsEN8rajaperf23RAJAPoolAllocatorHolderINS_13basic_mempool7MemPoolINS_3hip15PinnedAllocatorEEEE9AllocatorIcEENS0_10DispatcherILN4camp9resources2v18PlatformE8ENS5_15direct_dispatchIJNS0_29HoldHipDeviceXThreadblockLoopINS_17TypedRangeSegmentIllEENS7_4comm9HALO_base6PackerElJEEENSN_ISP_NSR_8UnPackerElJEEEEEENS4_3hip8hip_workILm1024ELb1EEEJEEEE19const_iterator_baseEEENS0_10WorkStructILm16ES10_EElJEEEvT0_DpT3_,@function
_ZN4RAJA6detail28hip_unordered_y_block_globalILm1024ENS0_22random_access_iteratorINS0_11WorkStorageINS_6policy9workgroup32constant_stride_array_of_objectsEN8rajaperf23RAJAPoolAllocatorHolderINS_13basic_mempool7MemPoolINS_3hip15PinnedAllocatorEEEE9AllocatorIcEENS0_10DispatcherILN4camp9resources2v18PlatformE8ENS5_15direct_dispatchIJNS0_29HoldHipDeviceXThreadblockLoopINS_17TypedRangeSegmentIllEENS7_4comm9HALO_base6PackerElJEEENSN_ISP_NSR_8UnPackerElJEEEEEENS4_3hip8hip_workILm1024ELb1EEEJEEEE19const_iterator_baseEEENS0_10WorkStructILm16ES10_EElJEEEvT0_DpT3_: ; @_ZN4RAJA6detail28hip_unordered_y_block_globalILm1024ENS0_22random_access_iteratorINS0_11WorkStorageINS_6policy9workgroup32constant_stride_array_of_objectsEN8rajaperf23RAJAPoolAllocatorHolderINS_13basic_mempool7MemPoolINS_3hip15PinnedAllocatorEEEE9AllocatorIcEENS0_10DispatcherILN4camp9resources2v18PlatformE8ENS5_15direct_dispatchIJNS0_29HoldHipDeviceXThreadblockLoopINS_17TypedRangeSegmentIllEENS7_4comm9HALO_base6PackerElJEEENSN_ISP_NSR_8UnPackerElJEEEEEENS4_3hip8hip_workILm1024ELb1EEEJEEEE19const_iterator_baseEEENS0_10WorkStructILm16ES10_EElJEEEvT0_DpT3_
; %bb.0:
	s_load_dwordx4 s[0:3], s[4:5], 0x0
	s_waitcnt lgkmcnt(0)
	s_mul_i32 s3, s3, s7
	s_mul_hi_u32 s8, s2, s7
	s_add_i32 s8, s8, s3
	s_mul_i32 s2, s2, s7
	s_add_u32 s12, s0, s2
	s_addc_u32 s13, s1, s8
	s_load_dword s7, s[12:13], 0x8
	s_mov_b64 s[0:1], -1
	s_waitcnt lgkmcnt(0)
	s_cmp_lt_i32 s7, 1
	s_cbranch_scc1 .LBB2_7
; %bb.1:
	s_cmp_eq_u32 s7, 1
	s_cbranch_scc0 .LBB2_6
; %bb.2:
	s_load_dword s0, s[4:5], 0x10
	s_add_u32 s1, s4, 16
	s_addc_u32 s3, s5, 0
	v_mov_b32_e32 v2, 0
	s_load_dwordx4 s[8:11], s[12:13], 0x10
	s_waitcnt lgkmcnt(0)
	s_cmp_lt_u32 s6, s0
	s_cselect_b32 s2, 12, 18
	s_add_u32 s2, s1, s2
	s_addc_u32 s3, s3, 0
	global_load_ushort v3, v2, s[2:3]
	s_sub_u32 s10, s10, s8
	s_subb_u32 s11, s11, s9
	s_waitcnt vmcnt(0)
	v_mul_lo_u32 v1, s6, v3
	v_add_u32_e32 v1, v1, v0
	v_cmp_gt_i64_e32 vcc, s[10:11], v[1:2]
	s_and_saveexec_b64 s[14:15], vcc
	s_cbranch_execz .LBB2_5
; %bb.3:
	v_mul_lo_u32 v3, s0, v3
	s_load_dwordx4 s[0:3], s[12:13], 0x20
	s_load_dwordx2 s[16:17], s[12:13], 0x30
	v_mov_b32_e32 v5, s9
	v_add_co_u32_e32 v9, vcc, s8, v1
	v_addc_co_u32_e32 v10, vcc, 0, v5, vcc
	v_lshlrev_b64 v[5:6], 2, v[9:10]
	s_waitcnt lgkmcnt(0)
	v_mov_b32_e32 v7, s17
	v_add_co_u32_e32 v5, vcc, s16, v5
	v_lshlrev_b64 v[9:10], 3, v[9:10]
	v_addc_co_u32_e32 v6, vcc, v7, v6, vcc
	v_mov_b32_e32 v4, v2
	v_mov_b32_e32 v11, s1
	v_add_co_u32_e32 v9, vcc, s0, v9
	v_lshlrev_b64 v[7:8], 2, v[3:4]
	v_addc_co_u32_e32 v10, vcc, v11, v10, vcc
	v_lshlrev_b64 v[11:12], 3, v[3:4]
	s_mov_b64 s[0:1], 0
	v_mov_b32_e32 v4, s3
.LBB2_4:                                ; =>This Inner Loop Header: Depth=1
	flat_load_dword v13, v[5:6]
	flat_load_dwordx2 v[15:16], v[9:10]
	v_add_co_u32_e32 v1, vcc, v1, v3
	v_addc_co_u32_e32 v2, vcc, 0, v2, vcc
	v_add_co_u32_e32 v5, vcc, v5, v7
	v_addc_co_u32_e32 v6, vcc, v6, v8, vcc
	v_add_co_u32_e32 v9, vcc, v9, v11
	v_addc_co_u32_e32 v10, vcc, v10, v12, vcc
	v_cmp_le_i64_e32 vcc, s[10:11], v[1:2]
	s_or_b64 s[0:1], vcc, s[0:1]
	s_waitcnt vmcnt(0) lgkmcnt(0)
	v_ashrrev_i32_e32 v14, 31, v13
	v_lshlrev_b64 v[13:14], 3, v[13:14]
	v_add_co_u32_e32 v13, vcc, s2, v13
	v_addc_co_u32_e32 v14, vcc, v4, v14, vcc
	flat_store_dwordx2 v[13:14], v[15:16]
	s_andn2_b64 exec, exec, s[0:1]
	s_cbranch_execnz .LBB2_4
.LBB2_5:
	s_or_b64 exec, exec, s[14:15]
.LBB2_6:
	s_mov_b64 s[0:1], 0
.LBB2_7:
	s_andn2_b64 vcc, exec, s[0:1]
	s_cbranch_vccnz .LBB2_12
; %bb.8:
	s_cmp_lg_u32 s7, 0
	s_cbranch_scc1 .LBB2_12
; %bb.9:
	s_load_dword s0, s[4:5], 0x10
	s_add_u32 s1, s4, 16
	s_addc_u32 s3, s5, 0
	v_mov_b32_e32 v1, 0
	s_load_dwordx4 s[8:11], s[12:13], 0x10
	s_waitcnt lgkmcnt(0)
	s_cmp_lt_u32 s6, s0
	s_cselect_b32 s2, 12, 18
	s_add_u32 s2, s1, s2
	s_addc_u32 s3, s3, 0
	global_load_ushort v2, v1, s[2:3]
	s_sub_u32 s4, s10, s8
	s_subb_u32 s5, s11, s9
	s_waitcnt vmcnt(0)
	v_mul_lo_u32 v3, s6, v2
	v_add_u32_e32 v0, v3, v0
	v_cmp_gt_i64_e32 vcc, s[4:5], v[0:1]
	s_and_saveexec_b64 s[2:3], vcc
	s_cbranch_execz .LBB2_12
; %bb.10:
	v_mul_lo_u32 v2, s0, v2
	s_load_dwordx4 s[0:3], s[12:13], 0x20
	s_load_dwordx2 s[6:7], s[12:13], 0x30
	v_mov_b32_e32 v4, s9
	v_add_co_u32_e32 v8, vcc, s8, v0
	v_addc_co_u32_e32 v9, vcc, 0, v4, vcc
	v_lshlrev_b64 v[4:5], 3, v[8:9]
	s_waitcnt lgkmcnt(0)
	v_mov_b32_e32 v6, s1
	v_add_co_u32_e32 v4, vcc, s0, v4
	v_lshlrev_b64 v[8:9], 2, v[8:9]
	v_addc_co_u32_e32 v5, vcc, v6, v5, vcc
	v_mov_b32_e32 v3, v1
	v_mov_b32_e32 v10, s7
	v_add_co_u32_e32 v8, vcc, s6, v8
	v_lshlrev_b64 v[6:7], 3, v[2:3]
	v_addc_co_u32_e32 v9, vcc, v10, v9, vcc
	v_lshlrev_b64 v[10:11], 2, v[2:3]
	s_mov_b64 s[0:1], 0
	v_mov_b32_e32 v3, s3
.LBB2_11:                               ; =>This Inner Loop Header: Depth=1
	flat_load_dword v12, v[8:9]
	s_waitcnt vmcnt(0) lgkmcnt(0)
	v_ashrrev_i32_e32 v13, 31, v12
	v_lshlrev_b64 v[12:13], 3, v[12:13]
	v_add_co_u32_e32 v12, vcc, s2, v12
	v_addc_co_u32_e32 v13, vcc, v3, v13, vcc
	flat_load_dwordx2 v[12:13], v[12:13]
	v_add_co_u32_e32 v0, vcc, v0, v2
	v_addc_co_u32_e32 v1, vcc, 0, v1, vcc
	v_add_co_u32_e32 v8, vcc, v8, v10
	v_addc_co_u32_e32 v9, vcc, v9, v11, vcc
	v_cmp_le_i64_e32 vcc, s[4:5], v[0:1]
	s_or_b64 s[0:1], vcc, s[0:1]
	s_waitcnt vmcnt(0) lgkmcnt(0)
	flat_store_dwordx2 v[4:5], v[12:13]
	v_add_co_u32_e32 v4, vcc, v4, v6
	v_addc_co_u32_e32 v5, vcc, v5, v7, vcc
	s_andn2_b64 exec, exec, s[0:1]
	s_cbranch_execnz .LBB2_11
.LBB2_12:
	s_endpgm
	.section	.rodata,"a",@progbits
	.p2align	6, 0x0
	.amdhsa_kernel _ZN4RAJA6detail28hip_unordered_y_block_globalILm1024ENS0_22random_access_iteratorINS0_11WorkStorageINS_6policy9workgroup32constant_stride_array_of_objectsEN8rajaperf23RAJAPoolAllocatorHolderINS_13basic_mempool7MemPoolINS_3hip15PinnedAllocatorEEEE9AllocatorIcEENS0_10DispatcherILN4camp9resources2v18PlatformE8ENS5_15direct_dispatchIJNS0_29HoldHipDeviceXThreadblockLoopINS_17TypedRangeSegmentIllEENS7_4comm9HALO_base6PackerElJEEENSN_ISP_NSR_8UnPackerElJEEEEEENS4_3hip8hip_workILm1024ELb1EEEJEEEE19const_iterator_baseEEENS0_10WorkStructILm16ES10_EElJEEEvT0_DpT3_
		.amdhsa_group_segment_fixed_size 0
		.amdhsa_private_segment_fixed_size 0
		.amdhsa_kernarg_size 272
		.amdhsa_user_sgpr_count 6
		.amdhsa_user_sgpr_private_segment_buffer 1
		.amdhsa_user_sgpr_dispatch_ptr 0
		.amdhsa_user_sgpr_queue_ptr 0
		.amdhsa_user_sgpr_kernarg_segment_ptr 1
		.amdhsa_user_sgpr_dispatch_id 0
		.amdhsa_user_sgpr_flat_scratch_init 0
		.amdhsa_user_sgpr_private_segment_size 0
		.amdhsa_uses_dynamic_stack 0
		.amdhsa_system_sgpr_private_segment_wavefront_offset 0
		.amdhsa_system_sgpr_workgroup_id_x 1
		.amdhsa_system_sgpr_workgroup_id_y 1
		.amdhsa_system_sgpr_workgroup_id_z 0
		.amdhsa_system_sgpr_workgroup_info 0
		.amdhsa_system_vgpr_workitem_id 0
		.amdhsa_next_free_vgpr 17
		.amdhsa_next_free_sgpr 18
		.amdhsa_reserve_vcc 1
		.amdhsa_reserve_flat_scratch 0
		.amdhsa_float_round_mode_32 0
		.amdhsa_float_round_mode_16_64 0
		.amdhsa_float_denorm_mode_32 3
		.amdhsa_float_denorm_mode_16_64 3
		.amdhsa_dx10_clamp 1
		.amdhsa_ieee_mode 1
		.amdhsa_fp16_overflow 0
		.amdhsa_exception_fp_ieee_invalid_op 0
		.amdhsa_exception_fp_denorm_src 0
		.amdhsa_exception_fp_ieee_div_zero 0
		.amdhsa_exception_fp_ieee_overflow 0
		.amdhsa_exception_fp_ieee_underflow 0
		.amdhsa_exception_fp_ieee_inexact 0
		.amdhsa_exception_int_div_zero 0
	.end_amdhsa_kernel
	.section	.text._ZN4RAJA6detail28hip_unordered_y_block_globalILm1024ENS0_22random_access_iteratorINS0_11WorkStorageINS_6policy9workgroup32constant_stride_array_of_objectsEN8rajaperf23RAJAPoolAllocatorHolderINS_13basic_mempool7MemPoolINS_3hip15PinnedAllocatorEEEE9AllocatorIcEENS0_10DispatcherILN4camp9resources2v18PlatformE8ENS5_15direct_dispatchIJNS0_29HoldHipDeviceXThreadblockLoopINS_17TypedRangeSegmentIllEENS7_4comm9HALO_base6PackerElJEEENSN_ISP_NSR_8UnPackerElJEEEEEENS4_3hip8hip_workILm1024ELb1EEEJEEEE19const_iterator_baseEEENS0_10WorkStructILm16ES10_EElJEEEvT0_DpT3_,"axG",@progbits,_ZN4RAJA6detail28hip_unordered_y_block_globalILm1024ENS0_22random_access_iteratorINS0_11WorkStorageINS_6policy9workgroup32constant_stride_array_of_objectsEN8rajaperf23RAJAPoolAllocatorHolderINS_13basic_mempool7MemPoolINS_3hip15PinnedAllocatorEEEE9AllocatorIcEENS0_10DispatcherILN4camp9resources2v18PlatformE8ENS5_15direct_dispatchIJNS0_29HoldHipDeviceXThreadblockLoopINS_17TypedRangeSegmentIllEENS7_4comm9HALO_base6PackerElJEEENSN_ISP_NSR_8UnPackerElJEEEEEENS4_3hip8hip_workILm1024ELb1EEEJEEEE19const_iterator_baseEEENS0_10WorkStructILm16ES10_EElJEEEvT0_DpT3_,comdat
.Lfunc_end2:
	.size	_ZN4RAJA6detail28hip_unordered_y_block_globalILm1024ENS0_22random_access_iteratorINS0_11WorkStorageINS_6policy9workgroup32constant_stride_array_of_objectsEN8rajaperf23RAJAPoolAllocatorHolderINS_13basic_mempool7MemPoolINS_3hip15PinnedAllocatorEEEE9AllocatorIcEENS0_10DispatcherILN4camp9resources2v18PlatformE8ENS5_15direct_dispatchIJNS0_29HoldHipDeviceXThreadblockLoopINS_17TypedRangeSegmentIllEENS7_4comm9HALO_base6PackerElJEEENSN_ISP_NSR_8UnPackerElJEEEEEENS4_3hip8hip_workILm1024ELb1EEEJEEEE19const_iterator_baseEEENS0_10WorkStructILm16ES10_EElJEEEvT0_DpT3_, .Lfunc_end2-_ZN4RAJA6detail28hip_unordered_y_block_globalILm1024ENS0_22random_access_iteratorINS0_11WorkStorageINS_6policy9workgroup32constant_stride_array_of_objectsEN8rajaperf23RAJAPoolAllocatorHolderINS_13basic_mempool7MemPoolINS_3hip15PinnedAllocatorEEEE9AllocatorIcEENS0_10DispatcherILN4camp9resources2v18PlatformE8ENS5_15direct_dispatchIJNS0_29HoldHipDeviceXThreadblockLoopINS_17TypedRangeSegmentIllEENS7_4comm9HALO_base6PackerElJEEENSN_ISP_NSR_8UnPackerElJEEEEEENS4_3hip8hip_workILm1024ELb1EEEJEEEE19const_iterator_baseEEENS0_10WorkStructILm16ES10_EElJEEEvT0_DpT3_
                                        ; -- End function
	.set _ZN4RAJA6detail28hip_unordered_y_block_globalILm1024ENS0_22random_access_iteratorINS0_11WorkStorageINS_6policy9workgroup32constant_stride_array_of_objectsEN8rajaperf23RAJAPoolAllocatorHolderINS_13basic_mempool7MemPoolINS_3hip15PinnedAllocatorEEEE9AllocatorIcEENS0_10DispatcherILN4camp9resources2v18PlatformE8ENS5_15direct_dispatchIJNS0_29HoldHipDeviceXThreadblockLoopINS_17TypedRangeSegmentIllEENS7_4comm9HALO_base6PackerElJEEENSN_ISP_NSR_8UnPackerElJEEEEEENS4_3hip8hip_workILm1024ELb1EEEJEEEE19const_iterator_baseEEENS0_10WorkStructILm16ES10_EElJEEEvT0_DpT3_.num_vgpr, 17
	.set _ZN4RAJA6detail28hip_unordered_y_block_globalILm1024ENS0_22random_access_iteratorINS0_11WorkStorageINS_6policy9workgroup32constant_stride_array_of_objectsEN8rajaperf23RAJAPoolAllocatorHolderINS_13basic_mempool7MemPoolINS_3hip15PinnedAllocatorEEEE9AllocatorIcEENS0_10DispatcherILN4camp9resources2v18PlatformE8ENS5_15direct_dispatchIJNS0_29HoldHipDeviceXThreadblockLoopINS_17TypedRangeSegmentIllEENS7_4comm9HALO_base6PackerElJEEENSN_ISP_NSR_8UnPackerElJEEEEEENS4_3hip8hip_workILm1024ELb1EEEJEEEE19const_iterator_baseEEENS0_10WorkStructILm16ES10_EElJEEEvT0_DpT3_.num_agpr, 0
	.set _ZN4RAJA6detail28hip_unordered_y_block_globalILm1024ENS0_22random_access_iteratorINS0_11WorkStorageINS_6policy9workgroup32constant_stride_array_of_objectsEN8rajaperf23RAJAPoolAllocatorHolderINS_13basic_mempool7MemPoolINS_3hip15PinnedAllocatorEEEE9AllocatorIcEENS0_10DispatcherILN4camp9resources2v18PlatformE8ENS5_15direct_dispatchIJNS0_29HoldHipDeviceXThreadblockLoopINS_17TypedRangeSegmentIllEENS7_4comm9HALO_base6PackerElJEEENSN_ISP_NSR_8UnPackerElJEEEEEENS4_3hip8hip_workILm1024ELb1EEEJEEEE19const_iterator_baseEEENS0_10WorkStructILm16ES10_EElJEEEvT0_DpT3_.numbered_sgpr, 18
	.set _ZN4RAJA6detail28hip_unordered_y_block_globalILm1024ENS0_22random_access_iteratorINS0_11WorkStorageINS_6policy9workgroup32constant_stride_array_of_objectsEN8rajaperf23RAJAPoolAllocatorHolderINS_13basic_mempool7MemPoolINS_3hip15PinnedAllocatorEEEE9AllocatorIcEENS0_10DispatcherILN4camp9resources2v18PlatformE8ENS5_15direct_dispatchIJNS0_29HoldHipDeviceXThreadblockLoopINS_17TypedRangeSegmentIllEENS7_4comm9HALO_base6PackerElJEEENSN_ISP_NSR_8UnPackerElJEEEEEENS4_3hip8hip_workILm1024ELb1EEEJEEEE19const_iterator_baseEEENS0_10WorkStructILm16ES10_EElJEEEvT0_DpT3_.num_named_barrier, 0
	.set _ZN4RAJA6detail28hip_unordered_y_block_globalILm1024ENS0_22random_access_iteratorINS0_11WorkStorageINS_6policy9workgroup32constant_stride_array_of_objectsEN8rajaperf23RAJAPoolAllocatorHolderINS_13basic_mempool7MemPoolINS_3hip15PinnedAllocatorEEEE9AllocatorIcEENS0_10DispatcherILN4camp9resources2v18PlatformE8ENS5_15direct_dispatchIJNS0_29HoldHipDeviceXThreadblockLoopINS_17TypedRangeSegmentIllEENS7_4comm9HALO_base6PackerElJEEENSN_ISP_NSR_8UnPackerElJEEEEEENS4_3hip8hip_workILm1024ELb1EEEJEEEE19const_iterator_baseEEENS0_10WorkStructILm16ES10_EElJEEEvT0_DpT3_.private_seg_size, 0
	.set _ZN4RAJA6detail28hip_unordered_y_block_globalILm1024ENS0_22random_access_iteratorINS0_11WorkStorageINS_6policy9workgroup32constant_stride_array_of_objectsEN8rajaperf23RAJAPoolAllocatorHolderINS_13basic_mempool7MemPoolINS_3hip15PinnedAllocatorEEEE9AllocatorIcEENS0_10DispatcherILN4camp9resources2v18PlatformE8ENS5_15direct_dispatchIJNS0_29HoldHipDeviceXThreadblockLoopINS_17TypedRangeSegmentIllEENS7_4comm9HALO_base6PackerElJEEENSN_ISP_NSR_8UnPackerElJEEEEEENS4_3hip8hip_workILm1024ELb1EEEJEEEE19const_iterator_baseEEENS0_10WorkStructILm16ES10_EElJEEEvT0_DpT3_.uses_vcc, 1
	.set _ZN4RAJA6detail28hip_unordered_y_block_globalILm1024ENS0_22random_access_iteratorINS0_11WorkStorageINS_6policy9workgroup32constant_stride_array_of_objectsEN8rajaperf23RAJAPoolAllocatorHolderINS_13basic_mempool7MemPoolINS_3hip15PinnedAllocatorEEEE9AllocatorIcEENS0_10DispatcherILN4camp9resources2v18PlatformE8ENS5_15direct_dispatchIJNS0_29HoldHipDeviceXThreadblockLoopINS_17TypedRangeSegmentIllEENS7_4comm9HALO_base6PackerElJEEENSN_ISP_NSR_8UnPackerElJEEEEEENS4_3hip8hip_workILm1024ELb1EEEJEEEE19const_iterator_baseEEENS0_10WorkStructILm16ES10_EElJEEEvT0_DpT3_.uses_flat_scratch, 0
	.set _ZN4RAJA6detail28hip_unordered_y_block_globalILm1024ENS0_22random_access_iteratorINS0_11WorkStorageINS_6policy9workgroup32constant_stride_array_of_objectsEN8rajaperf23RAJAPoolAllocatorHolderINS_13basic_mempool7MemPoolINS_3hip15PinnedAllocatorEEEE9AllocatorIcEENS0_10DispatcherILN4camp9resources2v18PlatformE8ENS5_15direct_dispatchIJNS0_29HoldHipDeviceXThreadblockLoopINS_17TypedRangeSegmentIllEENS7_4comm9HALO_base6PackerElJEEENSN_ISP_NSR_8UnPackerElJEEEEEENS4_3hip8hip_workILm1024ELb1EEEJEEEE19const_iterator_baseEEENS0_10WorkStructILm16ES10_EElJEEEvT0_DpT3_.has_dyn_sized_stack, 0
	.set _ZN4RAJA6detail28hip_unordered_y_block_globalILm1024ENS0_22random_access_iteratorINS0_11WorkStorageINS_6policy9workgroup32constant_stride_array_of_objectsEN8rajaperf23RAJAPoolAllocatorHolderINS_13basic_mempool7MemPoolINS_3hip15PinnedAllocatorEEEE9AllocatorIcEENS0_10DispatcherILN4camp9resources2v18PlatformE8ENS5_15direct_dispatchIJNS0_29HoldHipDeviceXThreadblockLoopINS_17TypedRangeSegmentIllEENS7_4comm9HALO_base6PackerElJEEENSN_ISP_NSR_8UnPackerElJEEEEEENS4_3hip8hip_workILm1024ELb1EEEJEEEE19const_iterator_baseEEENS0_10WorkStructILm16ES10_EElJEEEvT0_DpT3_.has_recursion, 0
	.set _ZN4RAJA6detail28hip_unordered_y_block_globalILm1024ENS0_22random_access_iteratorINS0_11WorkStorageINS_6policy9workgroup32constant_stride_array_of_objectsEN8rajaperf23RAJAPoolAllocatorHolderINS_13basic_mempool7MemPoolINS_3hip15PinnedAllocatorEEEE9AllocatorIcEENS0_10DispatcherILN4camp9resources2v18PlatformE8ENS5_15direct_dispatchIJNS0_29HoldHipDeviceXThreadblockLoopINS_17TypedRangeSegmentIllEENS7_4comm9HALO_base6PackerElJEEENSN_ISP_NSR_8UnPackerElJEEEEEENS4_3hip8hip_workILm1024ELb1EEEJEEEE19const_iterator_baseEEENS0_10WorkStructILm16ES10_EElJEEEvT0_DpT3_.has_indirect_call, 0
	.section	.AMDGPU.csdata,"",@progbits
; Kernel info:
; codeLenInByte = 676
; TotalNumSgprs: 22
; NumVgprs: 17
; ScratchSize: 0
; MemoryBound: 0
; FloatMode: 240
; IeeeMode: 1
; LDSByteSize: 0 bytes/workgroup (compile time only)
; SGPRBlocks: 2
; VGPRBlocks: 4
; NumSGPRsForWavesPerEU: 22
; NumVGPRsForWavesPerEU: 17
; Occupancy: 10
; WaveLimiterHint : 1
; COMPUTE_PGM_RSRC2:SCRATCH_EN: 0
; COMPUTE_PGM_RSRC2:USER_SGPR: 6
; COMPUTE_PGM_RSRC2:TRAP_HANDLER: 0
; COMPUTE_PGM_RSRC2:TGID_X_EN: 1
; COMPUTE_PGM_RSRC2:TGID_Y_EN: 1
; COMPUTE_PGM_RSRC2:TGID_Z_EN: 0
; COMPUTE_PGM_RSRC2:TIDIG_COMP_CNT: 0
	.section	.text._ZN4RAJA6detail3hip16get_value_globalINS0_10DispatcherILN4camp9resources2v18PlatformE8ENS_6policy9workgroup31indirect_function_call_dispatchENS8_3hip8hip_workILm1024ELb1EEEJEE20DeviceInvokerFactoryINS0_29HoldHipDeviceXThreadblockLoopINS_17TypedRangeSegmentIllEEN8rajaperf4comm9HALO_base6PackerElJEEEEEEEvPNT_10value_typeESP_,"axG",@progbits,_ZN4RAJA6detail3hip16get_value_globalINS0_10DispatcherILN4camp9resources2v18PlatformE8ENS_6policy9workgroup31indirect_function_call_dispatchENS8_3hip8hip_workILm1024ELb1EEEJEE20DeviceInvokerFactoryINS0_29HoldHipDeviceXThreadblockLoopINS_17TypedRangeSegmentIllEEN8rajaperf4comm9HALO_base6PackerElJEEEEEEEvPNT_10value_typeESP_,comdat
	.protected	_ZN4RAJA6detail3hip16get_value_globalINS0_10DispatcherILN4camp9resources2v18PlatformE8ENS_6policy9workgroup31indirect_function_call_dispatchENS8_3hip8hip_workILm1024ELb1EEEJEE20DeviceInvokerFactoryINS0_29HoldHipDeviceXThreadblockLoopINS_17TypedRangeSegmentIllEEN8rajaperf4comm9HALO_base6PackerElJEEEEEEEvPNT_10value_typeESP_ ; -- Begin function _ZN4RAJA6detail3hip16get_value_globalINS0_10DispatcherILN4camp9resources2v18PlatformE8ENS_6policy9workgroup31indirect_function_call_dispatchENS8_3hip8hip_workILm1024ELb1EEEJEE20DeviceInvokerFactoryINS0_29HoldHipDeviceXThreadblockLoopINS_17TypedRangeSegmentIllEEN8rajaperf4comm9HALO_base6PackerElJEEEEEEEvPNT_10value_typeESP_
	.globl	_ZN4RAJA6detail3hip16get_value_globalINS0_10DispatcherILN4camp9resources2v18PlatformE8ENS_6policy9workgroup31indirect_function_call_dispatchENS8_3hip8hip_workILm1024ELb1EEEJEE20DeviceInvokerFactoryINS0_29HoldHipDeviceXThreadblockLoopINS_17TypedRangeSegmentIllEEN8rajaperf4comm9HALO_base6PackerElJEEEEEEEvPNT_10value_typeESP_
	.p2align	8
	.type	_ZN4RAJA6detail3hip16get_value_globalINS0_10DispatcherILN4camp9resources2v18PlatformE8ENS_6policy9workgroup31indirect_function_call_dispatchENS8_3hip8hip_workILm1024ELb1EEEJEE20DeviceInvokerFactoryINS0_29HoldHipDeviceXThreadblockLoopINS_17TypedRangeSegmentIllEEN8rajaperf4comm9HALO_base6PackerElJEEEEEEEvPNT_10value_typeESP_,@function
_ZN4RAJA6detail3hip16get_value_globalINS0_10DispatcherILN4camp9resources2v18PlatformE8ENS_6policy9workgroup31indirect_function_call_dispatchENS8_3hip8hip_workILm1024ELb1EEEJEE20DeviceInvokerFactoryINS0_29HoldHipDeviceXThreadblockLoopINS_17TypedRangeSegmentIllEEN8rajaperf4comm9HALO_base6PackerElJEEEEEEEvPNT_10value_typeESP_: ; @_ZN4RAJA6detail3hip16get_value_globalINS0_10DispatcherILN4camp9resources2v18PlatformE8ENS_6policy9workgroup31indirect_function_call_dispatchENS8_3hip8hip_workILm1024ELb1EEEJEE20DeviceInvokerFactoryINS0_29HoldHipDeviceXThreadblockLoopINS_17TypedRangeSegmentIllEEN8rajaperf4comm9HALO_base6PackerElJEEEEEEEvPNT_10value_typeESP_
; %bb.0:
	s_load_dwordx2 s[0:1], s[4:5], 0x0
	s_getpc_b64 s[2:3]
	s_add_u32 s2, s2, _ZN4RAJA6detail10DispatcherILN4camp9resources2v18PlatformE8ENS_6policy9workgroup31indirect_function_call_dispatchENS6_3hip8hip_workILm1024ELb1EEEJEE15s_device_invokeINS0_29HoldHipDeviceXThreadblockLoopINS_17TypedRangeSegmentIllEEN8rajaperf4comm9HALO_base6PackerElJEEEEEvNS0_29DispatcherVoidConstPtrWrapperISB_EE@rel32@lo+4
	s_addc_u32 s3, s3, _ZN4RAJA6detail10DispatcherILN4camp9resources2v18PlatformE8ENS_6policy9workgroup31indirect_function_call_dispatchENS6_3hip8hip_workILm1024ELb1EEEJEE15s_device_invokeINS0_29HoldHipDeviceXThreadblockLoopINS_17TypedRangeSegmentIllEEN8rajaperf4comm9HALO_base6PackerElJEEEEEvNS0_29DispatcherVoidConstPtrWrapperISB_EE@rel32@hi+12
	v_mov_b32_e32 v0, s2
	v_mov_b32_e32 v2, 0
	v_mov_b32_e32 v1, s3
	s_waitcnt lgkmcnt(0)
	global_store_dwordx2 v2, v[0:1], s[0:1]
	s_endpgm
	.section	.rodata,"a",@progbits
	.p2align	6, 0x0
	.amdhsa_kernel _ZN4RAJA6detail3hip16get_value_globalINS0_10DispatcherILN4camp9resources2v18PlatformE8ENS_6policy9workgroup31indirect_function_call_dispatchENS8_3hip8hip_workILm1024ELb1EEEJEE20DeviceInvokerFactoryINS0_29HoldHipDeviceXThreadblockLoopINS_17TypedRangeSegmentIllEEN8rajaperf4comm9HALO_base6PackerElJEEEEEEEvPNT_10value_typeESP_
		.amdhsa_group_segment_fixed_size 0
		.amdhsa_private_segment_fixed_size 0
		.amdhsa_kernarg_size 12
		.amdhsa_user_sgpr_count 6
		.amdhsa_user_sgpr_private_segment_buffer 1
		.amdhsa_user_sgpr_dispatch_ptr 0
		.amdhsa_user_sgpr_queue_ptr 0
		.amdhsa_user_sgpr_kernarg_segment_ptr 1
		.amdhsa_user_sgpr_dispatch_id 0
		.amdhsa_user_sgpr_flat_scratch_init 0
		.amdhsa_user_sgpr_private_segment_size 0
		.amdhsa_uses_dynamic_stack 0
		.amdhsa_system_sgpr_private_segment_wavefront_offset 0
		.amdhsa_system_sgpr_workgroup_id_x 1
		.amdhsa_system_sgpr_workgroup_id_y 0
		.amdhsa_system_sgpr_workgroup_id_z 0
		.amdhsa_system_sgpr_workgroup_info 0
		.amdhsa_system_vgpr_workitem_id 0
		.amdhsa_next_free_vgpr 3
		.amdhsa_next_free_sgpr 6
		.amdhsa_reserve_vcc 0
		.amdhsa_reserve_flat_scratch 0
		.amdhsa_float_round_mode_32 0
		.amdhsa_float_round_mode_16_64 0
		.amdhsa_float_denorm_mode_32 3
		.amdhsa_float_denorm_mode_16_64 3
		.amdhsa_dx10_clamp 1
		.amdhsa_ieee_mode 1
		.amdhsa_fp16_overflow 0
		.amdhsa_exception_fp_ieee_invalid_op 0
		.amdhsa_exception_fp_denorm_src 0
		.amdhsa_exception_fp_ieee_div_zero 0
		.amdhsa_exception_fp_ieee_overflow 0
		.amdhsa_exception_fp_ieee_underflow 0
		.amdhsa_exception_fp_ieee_inexact 0
		.amdhsa_exception_int_div_zero 0
	.end_amdhsa_kernel
	.section	.text._ZN4RAJA6detail3hip16get_value_globalINS0_10DispatcherILN4camp9resources2v18PlatformE8ENS_6policy9workgroup31indirect_function_call_dispatchENS8_3hip8hip_workILm1024ELb1EEEJEE20DeviceInvokerFactoryINS0_29HoldHipDeviceXThreadblockLoopINS_17TypedRangeSegmentIllEEN8rajaperf4comm9HALO_base6PackerElJEEEEEEEvPNT_10value_typeESP_,"axG",@progbits,_ZN4RAJA6detail3hip16get_value_globalINS0_10DispatcherILN4camp9resources2v18PlatformE8ENS_6policy9workgroup31indirect_function_call_dispatchENS8_3hip8hip_workILm1024ELb1EEEJEE20DeviceInvokerFactoryINS0_29HoldHipDeviceXThreadblockLoopINS_17TypedRangeSegmentIllEEN8rajaperf4comm9HALO_base6PackerElJEEEEEEEvPNT_10value_typeESP_,comdat
.Lfunc_end3:
	.size	_ZN4RAJA6detail3hip16get_value_globalINS0_10DispatcherILN4camp9resources2v18PlatformE8ENS_6policy9workgroup31indirect_function_call_dispatchENS8_3hip8hip_workILm1024ELb1EEEJEE20DeviceInvokerFactoryINS0_29HoldHipDeviceXThreadblockLoopINS_17TypedRangeSegmentIllEEN8rajaperf4comm9HALO_base6PackerElJEEEEEEEvPNT_10value_typeESP_, .Lfunc_end3-_ZN4RAJA6detail3hip16get_value_globalINS0_10DispatcherILN4camp9resources2v18PlatformE8ENS_6policy9workgroup31indirect_function_call_dispatchENS8_3hip8hip_workILm1024ELb1EEEJEE20DeviceInvokerFactoryINS0_29HoldHipDeviceXThreadblockLoopINS_17TypedRangeSegmentIllEEN8rajaperf4comm9HALO_base6PackerElJEEEEEEEvPNT_10value_typeESP_
                                        ; -- End function
	.set _ZN4RAJA6detail3hip16get_value_globalINS0_10DispatcherILN4camp9resources2v18PlatformE8ENS_6policy9workgroup31indirect_function_call_dispatchENS8_3hip8hip_workILm1024ELb1EEEJEE20DeviceInvokerFactoryINS0_29HoldHipDeviceXThreadblockLoopINS_17TypedRangeSegmentIllEEN8rajaperf4comm9HALO_base6PackerElJEEEEEEEvPNT_10value_typeESP_.num_vgpr, 3
	.set _ZN4RAJA6detail3hip16get_value_globalINS0_10DispatcherILN4camp9resources2v18PlatformE8ENS_6policy9workgroup31indirect_function_call_dispatchENS8_3hip8hip_workILm1024ELb1EEEJEE20DeviceInvokerFactoryINS0_29HoldHipDeviceXThreadblockLoopINS_17TypedRangeSegmentIllEEN8rajaperf4comm9HALO_base6PackerElJEEEEEEEvPNT_10value_typeESP_.num_agpr, 0
	.set _ZN4RAJA6detail3hip16get_value_globalINS0_10DispatcherILN4camp9resources2v18PlatformE8ENS_6policy9workgroup31indirect_function_call_dispatchENS8_3hip8hip_workILm1024ELb1EEEJEE20DeviceInvokerFactoryINS0_29HoldHipDeviceXThreadblockLoopINS_17TypedRangeSegmentIllEEN8rajaperf4comm9HALO_base6PackerElJEEEEEEEvPNT_10value_typeESP_.numbered_sgpr, 6
	.set _ZN4RAJA6detail3hip16get_value_globalINS0_10DispatcherILN4camp9resources2v18PlatformE8ENS_6policy9workgroup31indirect_function_call_dispatchENS8_3hip8hip_workILm1024ELb1EEEJEE20DeviceInvokerFactoryINS0_29HoldHipDeviceXThreadblockLoopINS_17TypedRangeSegmentIllEEN8rajaperf4comm9HALO_base6PackerElJEEEEEEEvPNT_10value_typeESP_.num_named_barrier, 0
	.set _ZN4RAJA6detail3hip16get_value_globalINS0_10DispatcherILN4camp9resources2v18PlatformE8ENS_6policy9workgroup31indirect_function_call_dispatchENS8_3hip8hip_workILm1024ELb1EEEJEE20DeviceInvokerFactoryINS0_29HoldHipDeviceXThreadblockLoopINS_17TypedRangeSegmentIllEEN8rajaperf4comm9HALO_base6PackerElJEEEEEEEvPNT_10value_typeESP_.private_seg_size, 0
	.set _ZN4RAJA6detail3hip16get_value_globalINS0_10DispatcherILN4camp9resources2v18PlatformE8ENS_6policy9workgroup31indirect_function_call_dispatchENS8_3hip8hip_workILm1024ELb1EEEJEE20DeviceInvokerFactoryINS0_29HoldHipDeviceXThreadblockLoopINS_17TypedRangeSegmentIllEEN8rajaperf4comm9HALO_base6PackerElJEEEEEEEvPNT_10value_typeESP_.uses_vcc, 0
	.set _ZN4RAJA6detail3hip16get_value_globalINS0_10DispatcherILN4camp9resources2v18PlatformE8ENS_6policy9workgroup31indirect_function_call_dispatchENS8_3hip8hip_workILm1024ELb1EEEJEE20DeviceInvokerFactoryINS0_29HoldHipDeviceXThreadblockLoopINS_17TypedRangeSegmentIllEEN8rajaperf4comm9HALO_base6PackerElJEEEEEEEvPNT_10value_typeESP_.uses_flat_scratch, 0
	.set _ZN4RAJA6detail3hip16get_value_globalINS0_10DispatcherILN4camp9resources2v18PlatformE8ENS_6policy9workgroup31indirect_function_call_dispatchENS8_3hip8hip_workILm1024ELb1EEEJEE20DeviceInvokerFactoryINS0_29HoldHipDeviceXThreadblockLoopINS_17TypedRangeSegmentIllEEN8rajaperf4comm9HALO_base6PackerElJEEEEEEEvPNT_10value_typeESP_.has_dyn_sized_stack, 0
	.set _ZN4RAJA6detail3hip16get_value_globalINS0_10DispatcherILN4camp9resources2v18PlatformE8ENS_6policy9workgroup31indirect_function_call_dispatchENS8_3hip8hip_workILm1024ELb1EEEJEE20DeviceInvokerFactoryINS0_29HoldHipDeviceXThreadblockLoopINS_17TypedRangeSegmentIllEEN8rajaperf4comm9HALO_base6PackerElJEEEEEEEvPNT_10value_typeESP_.has_recursion, 0
	.set _ZN4RAJA6detail3hip16get_value_globalINS0_10DispatcherILN4camp9resources2v18PlatformE8ENS_6policy9workgroup31indirect_function_call_dispatchENS8_3hip8hip_workILm1024ELb1EEEJEE20DeviceInvokerFactoryINS0_29HoldHipDeviceXThreadblockLoopINS_17TypedRangeSegmentIllEEN8rajaperf4comm9HALO_base6PackerElJEEEEEEEvPNT_10value_typeESP_.has_indirect_call, 0
	.section	.AMDGPU.csdata,"",@progbits
; Kernel info:
; codeLenInByte = 56
; TotalNumSgprs: 10
; NumVgprs: 3
; ScratchSize: 0
; MemoryBound: 0
; FloatMode: 240
; IeeeMode: 1
; LDSByteSize: 0 bytes/workgroup (compile time only)
; SGPRBlocks: 1
; VGPRBlocks: 0
; NumSGPRsForWavesPerEU: 10
; NumVGPRsForWavesPerEU: 3
; Occupancy: 10
; WaveLimiterHint : 0
; COMPUTE_PGM_RSRC2:SCRATCH_EN: 0
; COMPUTE_PGM_RSRC2:USER_SGPR: 6
; COMPUTE_PGM_RSRC2:TRAP_HANDLER: 0
; COMPUTE_PGM_RSRC2:TGID_X_EN: 1
; COMPUTE_PGM_RSRC2:TGID_Y_EN: 0
; COMPUTE_PGM_RSRC2:TGID_Z_EN: 0
; COMPUTE_PGM_RSRC2:TIDIG_COMP_CNT: 0
	.text
	.p2align	2                               ; -- Begin function _ZN4RAJA6detail10DispatcherILN4camp9resources2v18PlatformE8ENS_6policy9workgroup31indirect_function_call_dispatchENS6_3hip8hip_workILm1024ELb1EEEJEE15s_device_invokeINS0_29HoldHipDeviceXThreadblockLoopINS_17TypedRangeSegmentIllEEN8rajaperf4comm9HALO_base6PackerElJEEEEEvNS0_29DispatcherVoidConstPtrWrapperISB_EE
	.type	_ZN4RAJA6detail10DispatcherILN4camp9resources2v18PlatformE8ENS_6policy9workgroup31indirect_function_call_dispatchENS6_3hip8hip_workILm1024ELb1EEEJEE15s_device_invokeINS0_29HoldHipDeviceXThreadblockLoopINS_17TypedRangeSegmentIllEEN8rajaperf4comm9HALO_base6PackerElJEEEEEvNS0_29DispatcherVoidConstPtrWrapperISB_EE,@function
_ZN4RAJA6detail10DispatcherILN4camp9resources2v18PlatformE8ENS_6policy9workgroup31indirect_function_call_dispatchENS6_3hip8hip_workILm1024ELb1EEEJEE15s_device_invokeINS0_29HoldHipDeviceXThreadblockLoopINS_17TypedRangeSegmentIllEEN8rajaperf4comm9HALO_base6PackerElJEEEEEvNS0_29DispatcherVoidConstPtrWrapperISB_EE: ; @_ZN4RAJA6detail10DispatcherILN4camp9resources2v18PlatformE8ENS_6policy9workgroup31indirect_function_call_dispatchENS6_3hip8hip_workILm1024ELb1EEEJEE15s_device_invokeINS0_29HoldHipDeviceXThreadblockLoopINS_17TypedRangeSegmentIllEEN8rajaperf4comm9HALO_base6PackerElJEEEEEvNS0_29DispatcherVoidConstPtrWrapperISB_EE
; %bb.0:
	s_waitcnt vmcnt(0) expcnt(0) lgkmcnt(0)
	s_load_dword s6, s[8:9], 0x0
	v_mov_b32_e32 v11, 0
	v_and_b32_e32 v3, 0x3ff, v31
	s_waitcnt lgkmcnt(0)
	s_cmp_lt_u32 s12, s6
	s_cselect_b32 s4, 12, 18
	s_add_u32 s4, s8, s4
	s_addc_u32 s5, s9, 0
	global_load_ushort v12, v11, s[4:5]
	flat_load_dwordx4 v[6:9], v[0:1]
	s_waitcnt vmcnt(0)
	v_mul_lo_u32 v2, s12, v12
	s_waitcnt lgkmcnt(0)
	v_sub_co_u32_e32 v8, vcc, v8, v6
	v_subb_co_u32_e32 v9, vcc, v9, v7, vcc
	v_add_u32_e32 v10, v2, v3
	v_cmp_gt_i64_e32 vcc, v[8:9], v[10:11]
	s_and_saveexec_b64 s[4:5], vcc
	s_cbranch_execz .LBB4_3
; %bb.1:
	flat_load_dwordx4 v[2:5], v[0:1] offset:16
	flat_load_dwordx2 v[14:15], v[0:1] offset:32
	s_load_dword s7, s[8:9], 0x10
	v_add_co_u32_e32 v6, vcc, v6, v10
	v_addc_co_u32_e32 v7, vcc, 0, v7, vcc
	s_waitcnt lgkmcnt(0)
	s_lshr_b32 s7, s7, 16
	s_cmp_lg_u32 s7, 0
	s_cselect_b64 s[8:9], -1, 0
	s_cmp_lg_u64 s[8:9], 0
	s_addc_u32 s6, s6, 0
	v_mul_lo_u32 v0, s6, v12
	v_lshlrev_b64 v[16:17], 3, v[6:7]
	v_mov_b32_e32 v1, v11
	v_lshlrev_b64 v[18:19], 2, v[6:7]
	v_lshlrev_b64 v[6:7], 3, v[0:1]
	v_lshlrev_b64 v[12:13], 2, v[0:1]
	s_mov_b64 s[6:7], 0
	s_waitcnt vmcnt(0)
	v_add_co_u32_e32 v1, vcc, v2, v16
	v_addc_co_u32_e32 v2, vcc, v3, v17, vcc
	v_add_co_u32_e32 v14, vcc, v14, v18
	v_addc_co_u32_e32 v15, vcc, v15, v19, vcc
.LBB4_2:                                ; =>This Inner Loop Header: Depth=1
	flat_load_dword v16, v[14:15]
	s_waitcnt vmcnt(0) lgkmcnt(0)
	v_ashrrev_i32_e32 v17, 31, v16
	v_lshlrev_b64 v[16:17], 3, v[16:17]
	v_add_co_u32_e32 v16, vcc, v4, v16
	v_addc_co_u32_e32 v17, vcc, v5, v17, vcc
	flat_load_dwordx2 v[16:17], v[16:17]
	v_add_co_u32_e32 v10, vcc, v10, v0
	v_addc_co_u32_e32 v11, vcc, 0, v11, vcc
	v_add_co_u32_e32 v14, vcc, v14, v12
	v_addc_co_u32_e32 v15, vcc, v15, v13, vcc
	v_cmp_ge_i64_e32 vcc, v[10:11], v[8:9]
	s_or_b64 s[6:7], vcc, s[6:7]
	s_waitcnt vmcnt(0) lgkmcnt(0)
	flat_store_dwordx2 v[1:2], v[16:17]
	v_add_co_u32_e32 v1, vcc, v1, v6
	v_addc_co_u32_e32 v2, vcc, v2, v7, vcc
	s_andn2_b64 exec, exec, s[6:7]
	s_cbranch_execnz .LBB4_2
.LBB4_3:
	s_or_b64 exec, exec, s[4:5]
	s_waitcnt vmcnt(0) lgkmcnt(0)
	s_setpc_b64 s[30:31]
.Lfunc_end4:
	.size	_ZN4RAJA6detail10DispatcherILN4camp9resources2v18PlatformE8ENS_6policy9workgroup31indirect_function_call_dispatchENS6_3hip8hip_workILm1024ELb1EEEJEE15s_device_invokeINS0_29HoldHipDeviceXThreadblockLoopINS_17TypedRangeSegmentIllEEN8rajaperf4comm9HALO_base6PackerElJEEEEEvNS0_29DispatcherVoidConstPtrWrapperISB_EE, .Lfunc_end4-_ZN4RAJA6detail10DispatcherILN4camp9resources2v18PlatformE8ENS_6policy9workgroup31indirect_function_call_dispatchENS6_3hip8hip_workILm1024ELb1EEEJEE15s_device_invokeINS0_29HoldHipDeviceXThreadblockLoopINS_17TypedRangeSegmentIllEEN8rajaperf4comm9HALO_base6PackerElJEEEEEvNS0_29DispatcherVoidConstPtrWrapperISB_EE
                                        ; -- End function
	.set .L_ZN4RAJA6detail10DispatcherILN4camp9resources2v18PlatformE8ENS_6policy9workgroup31indirect_function_call_dispatchENS6_3hip8hip_workILm1024ELb1EEEJEE15s_device_invokeINS0_29HoldHipDeviceXThreadblockLoopINS_17TypedRangeSegmentIllEEN8rajaperf4comm9HALO_base6PackerElJEEEEEvNS0_29DispatcherVoidConstPtrWrapperISB_EE.num_vgpr, 32
	.set .L_ZN4RAJA6detail10DispatcherILN4camp9resources2v18PlatformE8ENS_6policy9workgroup31indirect_function_call_dispatchENS6_3hip8hip_workILm1024ELb1EEEJEE15s_device_invokeINS0_29HoldHipDeviceXThreadblockLoopINS_17TypedRangeSegmentIllEEN8rajaperf4comm9HALO_base6PackerElJEEEEEvNS0_29DispatcherVoidConstPtrWrapperISB_EE.num_agpr, 0
	.set .L_ZN4RAJA6detail10DispatcherILN4camp9resources2v18PlatformE8ENS_6policy9workgroup31indirect_function_call_dispatchENS6_3hip8hip_workILm1024ELb1EEEJEE15s_device_invokeINS0_29HoldHipDeviceXThreadblockLoopINS_17TypedRangeSegmentIllEEN8rajaperf4comm9HALO_base6PackerElJEEEEEvNS0_29DispatcherVoidConstPtrWrapperISB_EE.numbered_sgpr, 32
	.set .L_ZN4RAJA6detail10DispatcherILN4camp9resources2v18PlatformE8ENS_6policy9workgroup31indirect_function_call_dispatchENS6_3hip8hip_workILm1024ELb1EEEJEE15s_device_invokeINS0_29HoldHipDeviceXThreadblockLoopINS_17TypedRangeSegmentIllEEN8rajaperf4comm9HALO_base6PackerElJEEEEEvNS0_29DispatcherVoidConstPtrWrapperISB_EE.num_named_barrier, 0
	.set .L_ZN4RAJA6detail10DispatcherILN4camp9resources2v18PlatformE8ENS_6policy9workgroup31indirect_function_call_dispatchENS6_3hip8hip_workILm1024ELb1EEEJEE15s_device_invokeINS0_29HoldHipDeviceXThreadblockLoopINS_17TypedRangeSegmentIllEEN8rajaperf4comm9HALO_base6PackerElJEEEEEvNS0_29DispatcherVoidConstPtrWrapperISB_EE.private_seg_size, 0
	.set .L_ZN4RAJA6detail10DispatcherILN4camp9resources2v18PlatformE8ENS_6policy9workgroup31indirect_function_call_dispatchENS6_3hip8hip_workILm1024ELb1EEEJEE15s_device_invokeINS0_29HoldHipDeviceXThreadblockLoopINS_17TypedRangeSegmentIllEEN8rajaperf4comm9HALO_base6PackerElJEEEEEvNS0_29DispatcherVoidConstPtrWrapperISB_EE.uses_vcc, 1
	.set .L_ZN4RAJA6detail10DispatcherILN4camp9resources2v18PlatformE8ENS_6policy9workgroup31indirect_function_call_dispatchENS6_3hip8hip_workILm1024ELb1EEEJEE15s_device_invokeINS0_29HoldHipDeviceXThreadblockLoopINS_17TypedRangeSegmentIllEEN8rajaperf4comm9HALO_base6PackerElJEEEEEvNS0_29DispatcherVoidConstPtrWrapperISB_EE.uses_flat_scratch, 0
	.set .L_ZN4RAJA6detail10DispatcherILN4camp9resources2v18PlatformE8ENS_6policy9workgroup31indirect_function_call_dispatchENS6_3hip8hip_workILm1024ELb1EEEJEE15s_device_invokeINS0_29HoldHipDeviceXThreadblockLoopINS_17TypedRangeSegmentIllEEN8rajaperf4comm9HALO_base6PackerElJEEEEEvNS0_29DispatcherVoidConstPtrWrapperISB_EE.has_dyn_sized_stack, 0
	.set .L_ZN4RAJA6detail10DispatcherILN4camp9resources2v18PlatformE8ENS_6policy9workgroup31indirect_function_call_dispatchENS6_3hip8hip_workILm1024ELb1EEEJEE15s_device_invokeINS0_29HoldHipDeviceXThreadblockLoopINS_17TypedRangeSegmentIllEEN8rajaperf4comm9HALO_base6PackerElJEEEEEvNS0_29DispatcherVoidConstPtrWrapperISB_EE.has_recursion, 0
	.set .L_ZN4RAJA6detail10DispatcherILN4camp9resources2v18PlatformE8ENS_6policy9workgroup31indirect_function_call_dispatchENS6_3hip8hip_workILm1024ELb1EEEJEE15s_device_invokeINS0_29HoldHipDeviceXThreadblockLoopINS_17TypedRangeSegmentIllEEN8rajaperf4comm9HALO_base6PackerElJEEEEEvNS0_29DispatcherVoidConstPtrWrapperISB_EE.has_indirect_call, 0
	.section	.AMDGPU.csdata,"",@progbits
; Function info:
; codeLenInByte = 328
; TotalNumSgprs: 36
; NumVgprs: 32
; ScratchSize: 0
; MemoryBound: 0
	.section	.text._ZN4RAJA6detail28hip_unordered_y_block_globalILm1024ENS0_22random_access_iteratorINS0_11WorkStorageINS_6policy9workgroup32constant_stride_array_of_objectsEN8rajaperf23RAJAPoolAllocatorHolderINS_13basic_mempool7MemPoolINS_3hip15PinnedAllocatorEEEE9AllocatorIcEENS0_10DispatcherILN4camp9resources2v18PlatformE8ENS5_31indirect_function_call_dispatchENS4_3hip8hip_workILm1024ELb1EEEJEEEE19const_iterator_baseEEENS0_10WorkStructILm16ESQ_EElJEEEvT0_DpT3_,"axG",@progbits,_ZN4RAJA6detail28hip_unordered_y_block_globalILm1024ENS0_22random_access_iteratorINS0_11WorkStorageINS_6policy9workgroup32constant_stride_array_of_objectsEN8rajaperf23RAJAPoolAllocatorHolderINS_13basic_mempool7MemPoolINS_3hip15PinnedAllocatorEEEE9AllocatorIcEENS0_10DispatcherILN4camp9resources2v18PlatformE8ENS5_31indirect_function_call_dispatchENS4_3hip8hip_workILm1024ELb1EEEJEEEE19const_iterator_baseEEENS0_10WorkStructILm16ESQ_EElJEEEvT0_DpT3_,comdat
	.protected	_ZN4RAJA6detail28hip_unordered_y_block_globalILm1024ENS0_22random_access_iteratorINS0_11WorkStorageINS_6policy9workgroup32constant_stride_array_of_objectsEN8rajaperf23RAJAPoolAllocatorHolderINS_13basic_mempool7MemPoolINS_3hip15PinnedAllocatorEEEE9AllocatorIcEENS0_10DispatcherILN4camp9resources2v18PlatformE8ENS5_31indirect_function_call_dispatchENS4_3hip8hip_workILm1024ELb1EEEJEEEE19const_iterator_baseEEENS0_10WorkStructILm16ESQ_EElJEEEvT0_DpT3_ ; -- Begin function _ZN4RAJA6detail28hip_unordered_y_block_globalILm1024ENS0_22random_access_iteratorINS0_11WorkStorageINS_6policy9workgroup32constant_stride_array_of_objectsEN8rajaperf23RAJAPoolAllocatorHolderINS_13basic_mempool7MemPoolINS_3hip15PinnedAllocatorEEEE9AllocatorIcEENS0_10DispatcherILN4camp9resources2v18PlatformE8ENS5_31indirect_function_call_dispatchENS4_3hip8hip_workILm1024ELb1EEEJEEEE19const_iterator_baseEEENS0_10WorkStructILm16ESQ_EElJEEEvT0_DpT3_
	.globl	_ZN4RAJA6detail28hip_unordered_y_block_globalILm1024ENS0_22random_access_iteratorINS0_11WorkStorageINS_6policy9workgroup32constant_stride_array_of_objectsEN8rajaperf23RAJAPoolAllocatorHolderINS_13basic_mempool7MemPoolINS_3hip15PinnedAllocatorEEEE9AllocatorIcEENS0_10DispatcherILN4camp9resources2v18PlatformE8ENS5_31indirect_function_call_dispatchENS4_3hip8hip_workILm1024ELb1EEEJEEEE19const_iterator_baseEEENS0_10WorkStructILm16ESQ_EElJEEEvT0_DpT3_
	.p2align	8
	.type	_ZN4RAJA6detail28hip_unordered_y_block_globalILm1024ENS0_22random_access_iteratorINS0_11WorkStorageINS_6policy9workgroup32constant_stride_array_of_objectsEN8rajaperf23RAJAPoolAllocatorHolderINS_13basic_mempool7MemPoolINS_3hip15PinnedAllocatorEEEE9AllocatorIcEENS0_10DispatcherILN4camp9resources2v18PlatformE8ENS5_31indirect_function_call_dispatchENS4_3hip8hip_workILm1024ELb1EEEJEEEE19const_iterator_baseEEENS0_10WorkStructILm16ESQ_EElJEEEvT0_DpT3_,@function
_ZN4RAJA6detail28hip_unordered_y_block_globalILm1024ENS0_22random_access_iteratorINS0_11WorkStorageINS_6policy9workgroup32constant_stride_array_of_objectsEN8rajaperf23RAJAPoolAllocatorHolderINS_13basic_mempool7MemPoolINS_3hip15PinnedAllocatorEEEE9AllocatorIcEENS0_10DispatcherILN4camp9resources2v18PlatformE8ENS5_31indirect_function_call_dispatchENS4_3hip8hip_workILm1024ELb1EEEJEEEE19const_iterator_baseEEENS0_10WorkStructILm16ESQ_EElJEEEvT0_DpT3_: ; @_ZN4RAJA6detail28hip_unordered_y_block_globalILm1024ENS0_22random_access_iteratorINS0_11WorkStorageINS_6policy9workgroup32constant_stride_array_of_objectsEN8rajaperf23RAJAPoolAllocatorHolderINS_13basic_mempool7MemPoolINS_3hip15PinnedAllocatorEEEE9AllocatorIcEENS0_10DispatcherILN4camp9resources2v18PlatformE8ENS5_31indirect_function_call_dispatchENS4_3hip8hip_workILm1024ELb1EEEJEEEE19const_iterator_baseEEENS0_10WorkStructILm16ESQ_EElJEEEvT0_DpT3_
; %bb.0:
	s_load_dwordx4 s[20:23], s[8:9], 0x0
	s_add_u32 flat_scratch_lo, s12, s17
	s_addc_u32 flat_scratch_hi, s13, 0
	s_add_u32 s0, s0, s17
	s_mov_b32 s13, s15
	s_mov_b32 s12, s14
	s_waitcnt lgkmcnt(0)
	s_mul_i32 s14, s23, s15
	s_mul_hi_u32 s15, s22, s15
	s_addc_u32 s1, s1, 0
	s_add_i32 s15, s15, s14
	s_mul_i32 s14, s22, s13
	s_add_u32 s14, s20, s14
	s_addc_u32 s15, s21, s15
	s_load_dwordx2 s[18:19], s[14:15], 0x8
	s_add_u32 s17, s14, 16
	s_addc_u32 s15, s15, 0
	s_add_u32 s8, s8, 16
	v_lshlrev_b32_e32 v2, 20, v2
	v_lshlrev_b32_e32 v1, 10, v1
	s_addc_u32 s9, s9, 0
	v_or3_b32 v31, v0, v1, v2
	s_mov_b32 s14, s16
	v_mov_b32_e32 v0, s17
	v_mov_b32_e32 v1, s15
	s_mov_b32 s32, 0
	s_waitcnt lgkmcnt(0)
	s_swappc_b64 s[30:31], s[18:19]
	s_endpgm
	.section	.rodata,"a",@progbits
	.p2align	6, 0x0
	.amdhsa_kernel _ZN4RAJA6detail28hip_unordered_y_block_globalILm1024ENS0_22random_access_iteratorINS0_11WorkStorageINS_6policy9workgroup32constant_stride_array_of_objectsEN8rajaperf23RAJAPoolAllocatorHolderINS_13basic_mempool7MemPoolINS_3hip15PinnedAllocatorEEEE9AllocatorIcEENS0_10DispatcherILN4camp9resources2v18PlatformE8ENS5_31indirect_function_call_dispatchENS4_3hip8hip_workILm1024ELb1EEEJEEEE19const_iterator_baseEEENS0_10WorkStructILm16ESQ_EElJEEEvT0_DpT3_
		.amdhsa_group_segment_fixed_size 0
		.amdhsa_private_segment_fixed_size 0
		.amdhsa_kernarg_size 272
		.amdhsa_user_sgpr_count 14
		.amdhsa_user_sgpr_private_segment_buffer 1
		.amdhsa_user_sgpr_dispatch_ptr 1
		.amdhsa_user_sgpr_queue_ptr 1
		.amdhsa_user_sgpr_kernarg_segment_ptr 1
		.amdhsa_user_sgpr_dispatch_id 1
		.amdhsa_user_sgpr_flat_scratch_init 1
		.amdhsa_user_sgpr_private_segment_size 0
		.amdhsa_uses_dynamic_stack 1
		.amdhsa_system_sgpr_private_segment_wavefront_offset 1
		.amdhsa_system_sgpr_workgroup_id_x 1
		.amdhsa_system_sgpr_workgroup_id_y 1
		.amdhsa_system_sgpr_workgroup_id_z 1
		.amdhsa_system_sgpr_workgroup_info 0
		.amdhsa_system_vgpr_workitem_id 2
		.amdhsa_next_free_vgpr max(totalnumvgprs(_ZN4RAJA6detail28hip_unordered_y_block_globalILm1024ENS0_22random_access_iteratorINS0_11WorkStorageINS_6policy9workgroup32constant_stride_array_of_objectsEN8rajaperf23RAJAPoolAllocatorHolderINS_13basic_mempool7MemPoolINS_3hip15PinnedAllocatorEEEE9AllocatorIcEENS0_10DispatcherILN4camp9resources2v18PlatformE8ENS5_31indirect_function_call_dispatchENS4_3hip8hip_workILm1024ELb1EEEJEEEE19const_iterator_baseEEENS0_10WorkStructILm16ESQ_EElJEEEvT0_DpT3_.num_agpr, _ZN4RAJA6detail28hip_unordered_y_block_globalILm1024ENS0_22random_access_iteratorINS0_11WorkStorageINS_6policy9workgroup32constant_stride_array_of_objectsEN8rajaperf23RAJAPoolAllocatorHolderINS_13basic_mempool7MemPoolINS_3hip15PinnedAllocatorEEEE9AllocatorIcEENS0_10DispatcherILN4camp9resources2v18PlatformE8ENS5_31indirect_function_call_dispatchENS4_3hip8hip_workILm1024ELb1EEEJEEEE19const_iterator_baseEEENS0_10WorkStructILm16ESQ_EElJEEEvT0_DpT3_.num_vgpr), 1, 0)
		.amdhsa_next_free_sgpr max(_ZN4RAJA6detail28hip_unordered_y_block_globalILm1024ENS0_22random_access_iteratorINS0_11WorkStorageINS_6policy9workgroup32constant_stride_array_of_objectsEN8rajaperf23RAJAPoolAllocatorHolderINS_13basic_mempool7MemPoolINS_3hip15PinnedAllocatorEEEE9AllocatorIcEENS0_10DispatcherILN4camp9resources2v18PlatformE8ENS5_31indirect_function_call_dispatchENS4_3hip8hip_workILm1024ELb1EEEJEEEE19const_iterator_baseEEENS0_10WorkStructILm16ESQ_EElJEEEvT0_DpT3_.numbered_sgpr+6, 1, 0)-6
		.amdhsa_reserve_vcc 1
		.amdhsa_reserve_flat_scratch 1
		.amdhsa_float_round_mode_32 0
		.amdhsa_float_round_mode_16_64 0
		.amdhsa_float_denorm_mode_32 3
		.amdhsa_float_denorm_mode_16_64 3
		.amdhsa_dx10_clamp 1
		.amdhsa_ieee_mode 1
		.amdhsa_fp16_overflow 0
		.amdhsa_exception_fp_ieee_invalid_op 0
		.amdhsa_exception_fp_denorm_src 0
		.amdhsa_exception_fp_ieee_div_zero 0
		.amdhsa_exception_fp_ieee_overflow 0
		.amdhsa_exception_fp_ieee_underflow 0
		.amdhsa_exception_fp_ieee_inexact 0
		.amdhsa_exception_int_div_zero 0
	.end_amdhsa_kernel
	.section	.text._ZN4RAJA6detail28hip_unordered_y_block_globalILm1024ENS0_22random_access_iteratorINS0_11WorkStorageINS_6policy9workgroup32constant_stride_array_of_objectsEN8rajaperf23RAJAPoolAllocatorHolderINS_13basic_mempool7MemPoolINS_3hip15PinnedAllocatorEEEE9AllocatorIcEENS0_10DispatcherILN4camp9resources2v18PlatformE8ENS5_31indirect_function_call_dispatchENS4_3hip8hip_workILm1024ELb1EEEJEEEE19const_iterator_baseEEENS0_10WorkStructILm16ESQ_EElJEEEvT0_DpT3_,"axG",@progbits,_ZN4RAJA6detail28hip_unordered_y_block_globalILm1024ENS0_22random_access_iteratorINS0_11WorkStorageINS_6policy9workgroup32constant_stride_array_of_objectsEN8rajaperf23RAJAPoolAllocatorHolderINS_13basic_mempool7MemPoolINS_3hip15PinnedAllocatorEEEE9AllocatorIcEENS0_10DispatcherILN4camp9resources2v18PlatformE8ENS5_31indirect_function_call_dispatchENS4_3hip8hip_workILm1024ELb1EEEJEEEE19const_iterator_baseEEENS0_10WorkStructILm16ESQ_EElJEEEvT0_DpT3_,comdat
.Lfunc_end5:
	.size	_ZN4RAJA6detail28hip_unordered_y_block_globalILm1024ENS0_22random_access_iteratorINS0_11WorkStorageINS_6policy9workgroup32constant_stride_array_of_objectsEN8rajaperf23RAJAPoolAllocatorHolderINS_13basic_mempool7MemPoolINS_3hip15PinnedAllocatorEEEE9AllocatorIcEENS0_10DispatcherILN4camp9resources2v18PlatformE8ENS5_31indirect_function_call_dispatchENS4_3hip8hip_workILm1024ELb1EEEJEEEE19const_iterator_baseEEENS0_10WorkStructILm16ESQ_EElJEEEvT0_DpT3_, .Lfunc_end5-_ZN4RAJA6detail28hip_unordered_y_block_globalILm1024ENS0_22random_access_iteratorINS0_11WorkStorageINS_6policy9workgroup32constant_stride_array_of_objectsEN8rajaperf23RAJAPoolAllocatorHolderINS_13basic_mempool7MemPoolINS_3hip15PinnedAllocatorEEEE9AllocatorIcEENS0_10DispatcherILN4camp9resources2v18PlatformE8ENS5_31indirect_function_call_dispatchENS4_3hip8hip_workILm1024ELb1EEEJEEEE19const_iterator_baseEEENS0_10WorkStructILm16ESQ_EElJEEEvT0_DpT3_
                                        ; -- End function
	.set _ZN4RAJA6detail28hip_unordered_y_block_globalILm1024ENS0_22random_access_iteratorINS0_11WorkStorageINS_6policy9workgroup32constant_stride_array_of_objectsEN8rajaperf23RAJAPoolAllocatorHolderINS_13basic_mempool7MemPoolINS_3hip15PinnedAllocatorEEEE9AllocatorIcEENS0_10DispatcherILN4camp9resources2v18PlatformE8ENS5_31indirect_function_call_dispatchENS4_3hip8hip_workILm1024ELb1EEEJEEEE19const_iterator_baseEEENS0_10WorkStructILm16ESQ_EElJEEEvT0_DpT3_.num_vgpr, max(32, amdgpu.max_num_vgpr)
	.set _ZN4RAJA6detail28hip_unordered_y_block_globalILm1024ENS0_22random_access_iteratorINS0_11WorkStorageINS_6policy9workgroup32constant_stride_array_of_objectsEN8rajaperf23RAJAPoolAllocatorHolderINS_13basic_mempool7MemPoolINS_3hip15PinnedAllocatorEEEE9AllocatorIcEENS0_10DispatcherILN4camp9resources2v18PlatformE8ENS5_31indirect_function_call_dispatchENS4_3hip8hip_workILm1024ELb1EEEJEEEE19const_iterator_baseEEENS0_10WorkStructILm16ESQ_EElJEEEvT0_DpT3_.num_agpr, max(0, amdgpu.max_num_agpr)
	.set _ZN4RAJA6detail28hip_unordered_y_block_globalILm1024ENS0_22random_access_iteratorINS0_11WorkStorageINS_6policy9workgroup32constant_stride_array_of_objectsEN8rajaperf23RAJAPoolAllocatorHolderINS_13basic_mempool7MemPoolINS_3hip15PinnedAllocatorEEEE9AllocatorIcEENS0_10DispatcherILN4camp9resources2v18PlatformE8ENS5_31indirect_function_call_dispatchENS4_3hip8hip_workILm1024ELb1EEEJEEEE19const_iterator_baseEEENS0_10WorkStructILm16ESQ_EElJEEEvT0_DpT3_.numbered_sgpr, max(33, amdgpu.max_num_sgpr)
	.set _ZN4RAJA6detail28hip_unordered_y_block_globalILm1024ENS0_22random_access_iteratorINS0_11WorkStorageINS_6policy9workgroup32constant_stride_array_of_objectsEN8rajaperf23RAJAPoolAllocatorHolderINS_13basic_mempool7MemPoolINS_3hip15PinnedAllocatorEEEE9AllocatorIcEENS0_10DispatcherILN4camp9resources2v18PlatformE8ENS5_31indirect_function_call_dispatchENS4_3hip8hip_workILm1024ELb1EEEJEEEE19const_iterator_baseEEENS0_10WorkStructILm16ESQ_EElJEEEvT0_DpT3_.num_named_barrier, max(0, amdgpu.max_num_named_barrier)
	.set _ZN4RAJA6detail28hip_unordered_y_block_globalILm1024ENS0_22random_access_iteratorINS0_11WorkStorageINS_6policy9workgroup32constant_stride_array_of_objectsEN8rajaperf23RAJAPoolAllocatorHolderINS_13basic_mempool7MemPoolINS_3hip15PinnedAllocatorEEEE9AllocatorIcEENS0_10DispatcherILN4camp9resources2v18PlatformE8ENS5_31indirect_function_call_dispatchENS4_3hip8hip_workILm1024ELb1EEEJEEEE19const_iterator_baseEEENS0_10WorkStructILm16ESQ_EElJEEEvT0_DpT3_.private_seg_size, 0
	.set _ZN4RAJA6detail28hip_unordered_y_block_globalILm1024ENS0_22random_access_iteratorINS0_11WorkStorageINS_6policy9workgroup32constant_stride_array_of_objectsEN8rajaperf23RAJAPoolAllocatorHolderINS_13basic_mempool7MemPoolINS_3hip15PinnedAllocatorEEEE9AllocatorIcEENS0_10DispatcherILN4camp9resources2v18PlatformE8ENS5_31indirect_function_call_dispatchENS4_3hip8hip_workILm1024ELb1EEEJEEEE19const_iterator_baseEEENS0_10WorkStructILm16ESQ_EElJEEEvT0_DpT3_.uses_vcc, 1
	.set _ZN4RAJA6detail28hip_unordered_y_block_globalILm1024ENS0_22random_access_iteratorINS0_11WorkStorageINS_6policy9workgroup32constant_stride_array_of_objectsEN8rajaperf23RAJAPoolAllocatorHolderINS_13basic_mempool7MemPoolINS_3hip15PinnedAllocatorEEEE9AllocatorIcEENS0_10DispatcherILN4camp9resources2v18PlatformE8ENS5_31indirect_function_call_dispatchENS4_3hip8hip_workILm1024ELb1EEEJEEEE19const_iterator_baseEEENS0_10WorkStructILm16ESQ_EElJEEEvT0_DpT3_.uses_flat_scratch, 1
	.set _ZN4RAJA6detail28hip_unordered_y_block_globalILm1024ENS0_22random_access_iteratorINS0_11WorkStorageINS_6policy9workgroup32constant_stride_array_of_objectsEN8rajaperf23RAJAPoolAllocatorHolderINS_13basic_mempool7MemPoolINS_3hip15PinnedAllocatorEEEE9AllocatorIcEENS0_10DispatcherILN4camp9resources2v18PlatformE8ENS5_31indirect_function_call_dispatchENS4_3hip8hip_workILm1024ELb1EEEJEEEE19const_iterator_baseEEENS0_10WorkStructILm16ESQ_EElJEEEvT0_DpT3_.has_dyn_sized_stack, 1
	.set _ZN4RAJA6detail28hip_unordered_y_block_globalILm1024ENS0_22random_access_iteratorINS0_11WorkStorageINS_6policy9workgroup32constant_stride_array_of_objectsEN8rajaperf23RAJAPoolAllocatorHolderINS_13basic_mempool7MemPoolINS_3hip15PinnedAllocatorEEEE9AllocatorIcEENS0_10DispatcherILN4camp9resources2v18PlatformE8ENS5_31indirect_function_call_dispatchENS4_3hip8hip_workILm1024ELb1EEEJEEEE19const_iterator_baseEEENS0_10WorkStructILm16ESQ_EElJEEEvT0_DpT3_.has_recursion, 1
	.set _ZN4RAJA6detail28hip_unordered_y_block_globalILm1024ENS0_22random_access_iteratorINS0_11WorkStorageINS_6policy9workgroup32constant_stride_array_of_objectsEN8rajaperf23RAJAPoolAllocatorHolderINS_13basic_mempool7MemPoolINS_3hip15PinnedAllocatorEEEE9AllocatorIcEENS0_10DispatcherILN4camp9resources2v18PlatformE8ENS5_31indirect_function_call_dispatchENS4_3hip8hip_workILm1024ELb1EEEJEEEE19const_iterator_baseEEENS0_10WorkStructILm16ESQ_EElJEEEvT0_DpT3_.has_indirect_call, 1
	.section	.AMDGPU.csdata,"",@progbits
; Kernel info:
; codeLenInByte = 128
; TotalNumSgprs: _ZN4RAJA6detail28hip_unordered_y_block_globalILm1024ENS0_22random_access_iteratorINS0_11WorkStorageINS_6policy9workgroup32constant_stride_array_of_objectsEN8rajaperf23RAJAPoolAllocatorHolderINS_13basic_mempool7MemPoolINS_3hip15PinnedAllocatorEEEE9AllocatorIcEENS0_10DispatcherILN4camp9resources2v18PlatformE8ENS5_31indirect_function_call_dispatchENS4_3hip8hip_workILm1024ELb1EEEJEEEE19const_iterator_baseEEENS0_10WorkStructILm16ESQ_EElJEEEvT0_DpT3_.numbered_sgpr+6
; NumVgprs: _ZN4RAJA6detail28hip_unordered_y_block_globalILm1024ENS0_22random_access_iteratorINS0_11WorkStorageINS_6policy9workgroup32constant_stride_array_of_objectsEN8rajaperf23RAJAPoolAllocatorHolderINS_13basic_mempool7MemPoolINS_3hip15PinnedAllocatorEEEE9AllocatorIcEENS0_10DispatcherILN4camp9resources2v18PlatformE8ENS5_31indirect_function_call_dispatchENS4_3hip8hip_workILm1024ELb1EEEJEEEE19const_iterator_baseEEENS0_10WorkStructILm16ESQ_EElJEEEvT0_DpT3_.num_vgpr
; ScratchSize: 0
; MemoryBound: 0
; FloatMode: 240
; IeeeMode: 1
; LDSByteSize: 0 bytes/workgroup (compile time only)
; SGPRBlocks: (alignto(max(max(_ZN4RAJA6detail28hip_unordered_y_block_globalILm1024ENS0_22random_access_iteratorINS0_11WorkStorageINS_6policy9workgroup32constant_stride_array_of_objectsEN8rajaperf23RAJAPoolAllocatorHolderINS_13basic_mempool7MemPoolINS_3hip15PinnedAllocatorEEEE9AllocatorIcEENS0_10DispatcherILN4camp9resources2v18PlatformE8ENS5_31indirect_function_call_dispatchENS4_3hip8hip_workILm1024ELb1EEEJEEEE19const_iterator_baseEEENS0_10WorkStructILm16ESQ_EElJEEEvT0_DpT3_.numbered_sgpr+extrasgprs(_ZN4RAJA6detail28hip_unordered_y_block_globalILm1024ENS0_22random_access_iteratorINS0_11WorkStorageINS_6policy9workgroup32constant_stride_array_of_objectsEN8rajaperf23RAJAPoolAllocatorHolderINS_13basic_mempool7MemPoolINS_3hip15PinnedAllocatorEEEE9AllocatorIcEENS0_10DispatcherILN4camp9resources2v18PlatformE8ENS5_31indirect_function_call_dispatchENS4_3hip8hip_workILm1024ELb1EEEJEEEE19const_iterator_baseEEENS0_10WorkStructILm16ESQ_EElJEEEvT0_DpT3_.uses_vcc, _ZN4RAJA6detail28hip_unordered_y_block_globalILm1024ENS0_22random_access_iteratorINS0_11WorkStorageINS_6policy9workgroup32constant_stride_array_of_objectsEN8rajaperf23RAJAPoolAllocatorHolderINS_13basic_mempool7MemPoolINS_3hip15PinnedAllocatorEEEE9AllocatorIcEENS0_10DispatcherILN4camp9resources2v18PlatformE8ENS5_31indirect_function_call_dispatchENS4_3hip8hip_workILm1024ELb1EEEJEEEE19const_iterator_baseEEENS0_10WorkStructILm16ESQ_EElJEEEvT0_DpT3_.uses_flat_scratch, 1), 1, 0), 1), 8)/8)-1
; VGPRBlocks: (alignto(max(max(totalnumvgprs(_ZN4RAJA6detail28hip_unordered_y_block_globalILm1024ENS0_22random_access_iteratorINS0_11WorkStorageINS_6policy9workgroup32constant_stride_array_of_objectsEN8rajaperf23RAJAPoolAllocatorHolderINS_13basic_mempool7MemPoolINS_3hip15PinnedAllocatorEEEE9AllocatorIcEENS0_10DispatcherILN4camp9resources2v18PlatformE8ENS5_31indirect_function_call_dispatchENS4_3hip8hip_workILm1024ELb1EEEJEEEE19const_iterator_baseEEENS0_10WorkStructILm16ESQ_EElJEEEvT0_DpT3_.num_agpr, _ZN4RAJA6detail28hip_unordered_y_block_globalILm1024ENS0_22random_access_iteratorINS0_11WorkStorageINS_6policy9workgroup32constant_stride_array_of_objectsEN8rajaperf23RAJAPoolAllocatorHolderINS_13basic_mempool7MemPoolINS_3hip15PinnedAllocatorEEEE9AllocatorIcEENS0_10DispatcherILN4camp9resources2v18PlatformE8ENS5_31indirect_function_call_dispatchENS4_3hip8hip_workILm1024ELb1EEEJEEEE19const_iterator_baseEEENS0_10WorkStructILm16ESQ_EElJEEEvT0_DpT3_.num_vgpr), 1, 0), 1), 4)/4)-1
; NumSGPRsForWavesPerEU: max(_ZN4RAJA6detail28hip_unordered_y_block_globalILm1024ENS0_22random_access_iteratorINS0_11WorkStorageINS_6policy9workgroup32constant_stride_array_of_objectsEN8rajaperf23RAJAPoolAllocatorHolderINS_13basic_mempool7MemPoolINS_3hip15PinnedAllocatorEEEE9AllocatorIcEENS0_10DispatcherILN4camp9resources2v18PlatformE8ENS5_31indirect_function_call_dispatchENS4_3hip8hip_workILm1024ELb1EEEJEEEE19const_iterator_baseEEENS0_10WorkStructILm16ESQ_EElJEEEvT0_DpT3_.numbered_sgpr+6, 1, 0)
; NumVGPRsForWavesPerEU: max(totalnumvgprs(_ZN4RAJA6detail28hip_unordered_y_block_globalILm1024ENS0_22random_access_iteratorINS0_11WorkStorageINS_6policy9workgroup32constant_stride_array_of_objectsEN8rajaperf23RAJAPoolAllocatorHolderINS_13basic_mempool7MemPoolINS_3hip15PinnedAllocatorEEEE9AllocatorIcEENS0_10DispatcherILN4camp9resources2v18PlatformE8ENS5_31indirect_function_call_dispatchENS4_3hip8hip_workILm1024ELb1EEEJEEEE19const_iterator_baseEEENS0_10WorkStructILm16ESQ_EElJEEEvT0_DpT3_.num_agpr, _ZN4RAJA6detail28hip_unordered_y_block_globalILm1024ENS0_22random_access_iteratorINS0_11WorkStorageINS_6policy9workgroup32constant_stride_array_of_objectsEN8rajaperf23RAJAPoolAllocatorHolderINS_13basic_mempool7MemPoolINS_3hip15PinnedAllocatorEEEE9AllocatorIcEENS0_10DispatcherILN4camp9resources2v18PlatformE8ENS5_31indirect_function_call_dispatchENS4_3hip8hip_workILm1024ELb1EEEJEEEE19const_iterator_baseEEENS0_10WorkStructILm16ESQ_EElJEEEvT0_DpT3_.num_vgpr), 1, 0)
; Occupancy: occupancy(10, 4, 256, 8, 10, max(_ZN4RAJA6detail28hip_unordered_y_block_globalILm1024ENS0_22random_access_iteratorINS0_11WorkStorageINS_6policy9workgroup32constant_stride_array_of_objectsEN8rajaperf23RAJAPoolAllocatorHolderINS_13basic_mempool7MemPoolINS_3hip15PinnedAllocatorEEEE9AllocatorIcEENS0_10DispatcherILN4camp9resources2v18PlatformE8ENS5_31indirect_function_call_dispatchENS4_3hip8hip_workILm1024ELb1EEEJEEEE19const_iterator_baseEEENS0_10WorkStructILm16ESQ_EElJEEEvT0_DpT3_.numbered_sgpr+extrasgprs(_ZN4RAJA6detail28hip_unordered_y_block_globalILm1024ENS0_22random_access_iteratorINS0_11WorkStorageINS_6policy9workgroup32constant_stride_array_of_objectsEN8rajaperf23RAJAPoolAllocatorHolderINS_13basic_mempool7MemPoolINS_3hip15PinnedAllocatorEEEE9AllocatorIcEENS0_10DispatcherILN4camp9resources2v18PlatformE8ENS5_31indirect_function_call_dispatchENS4_3hip8hip_workILm1024ELb1EEEJEEEE19const_iterator_baseEEENS0_10WorkStructILm16ESQ_EElJEEEvT0_DpT3_.uses_vcc, _ZN4RAJA6detail28hip_unordered_y_block_globalILm1024ENS0_22random_access_iteratorINS0_11WorkStorageINS_6policy9workgroup32constant_stride_array_of_objectsEN8rajaperf23RAJAPoolAllocatorHolderINS_13basic_mempool7MemPoolINS_3hip15PinnedAllocatorEEEE9AllocatorIcEENS0_10DispatcherILN4camp9resources2v18PlatformE8ENS5_31indirect_function_call_dispatchENS4_3hip8hip_workILm1024ELb1EEEJEEEE19const_iterator_baseEEENS0_10WorkStructILm16ESQ_EElJEEEvT0_DpT3_.uses_flat_scratch, 1), 1, 0), max(totalnumvgprs(_ZN4RAJA6detail28hip_unordered_y_block_globalILm1024ENS0_22random_access_iteratorINS0_11WorkStorageINS_6policy9workgroup32constant_stride_array_of_objectsEN8rajaperf23RAJAPoolAllocatorHolderINS_13basic_mempool7MemPoolINS_3hip15PinnedAllocatorEEEE9AllocatorIcEENS0_10DispatcherILN4camp9resources2v18PlatformE8ENS5_31indirect_function_call_dispatchENS4_3hip8hip_workILm1024ELb1EEEJEEEE19const_iterator_baseEEENS0_10WorkStructILm16ESQ_EElJEEEvT0_DpT3_.num_agpr, _ZN4RAJA6detail28hip_unordered_y_block_globalILm1024ENS0_22random_access_iteratorINS0_11WorkStorageINS_6policy9workgroup32constant_stride_array_of_objectsEN8rajaperf23RAJAPoolAllocatorHolderINS_13basic_mempool7MemPoolINS_3hip15PinnedAllocatorEEEE9AllocatorIcEENS0_10DispatcherILN4camp9resources2v18PlatformE8ENS5_31indirect_function_call_dispatchENS4_3hip8hip_workILm1024ELb1EEEJEEEE19const_iterator_baseEEENS0_10WorkStructILm16ESQ_EElJEEEvT0_DpT3_.num_vgpr), 1, 0))
; WaveLimiterHint : 0
; COMPUTE_PGM_RSRC2:SCRATCH_EN: 1
; COMPUTE_PGM_RSRC2:USER_SGPR: 14
; COMPUTE_PGM_RSRC2:TRAP_HANDLER: 0
; COMPUTE_PGM_RSRC2:TGID_X_EN: 1
; COMPUTE_PGM_RSRC2:TGID_Y_EN: 1
; COMPUTE_PGM_RSRC2:TGID_Z_EN: 1
; COMPUTE_PGM_RSRC2:TIDIG_COMP_CNT: 2
	.section	.text._ZN4RAJA6detail3hip16get_value_globalINS0_10DispatcherILN4camp9resources2v18PlatformE8ENS_6policy9workgroup31indirect_function_call_dispatchENS8_3hip8hip_workILm1024ELb1EEEJEE20DeviceInvokerFactoryINS0_29HoldHipDeviceXThreadblockLoopINS_17TypedRangeSegmentIllEEN8rajaperf4comm9HALO_base8UnPackerElJEEEEEEEvPNT_10value_typeESP_,"axG",@progbits,_ZN4RAJA6detail3hip16get_value_globalINS0_10DispatcherILN4camp9resources2v18PlatformE8ENS_6policy9workgroup31indirect_function_call_dispatchENS8_3hip8hip_workILm1024ELb1EEEJEE20DeviceInvokerFactoryINS0_29HoldHipDeviceXThreadblockLoopINS_17TypedRangeSegmentIllEEN8rajaperf4comm9HALO_base8UnPackerElJEEEEEEEvPNT_10value_typeESP_,comdat
	.protected	_ZN4RAJA6detail3hip16get_value_globalINS0_10DispatcherILN4camp9resources2v18PlatformE8ENS_6policy9workgroup31indirect_function_call_dispatchENS8_3hip8hip_workILm1024ELb1EEEJEE20DeviceInvokerFactoryINS0_29HoldHipDeviceXThreadblockLoopINS_17TypedRangeSegmentIllEEN8rajaperf4comm9HALO_base8UnPackerElJEEEEEEEvPNT_10value_typeESP_ ; -- Begin function _ZN4RAJA6detail3hip16get_value_globalINS0_10DispatcherILN4camp9resources2v18PlatformE8ENS_6policy9workgroup31indirect_function_call_dispatchENS8_3hip8hip_workILm1024ELb1EEEJEE20DeviceInvokerFactoryINS0_29HoldHipDeviceXThreadblockLoopINS_17TypedRangeSegmentIllEEN8rajaperf4comm9HALO_base8UnPackerElJEEEEEEEvPNT_10value_typeESP_
	.globl	_ZN4RAJA6detail3hip16get_value_globalINS0_10DispatcherILN4camp9resources2v18PlatformE8ENS_6policy9workgroup31indirect_function_call_dispatchENS8_3hip8hip_workILm1024ELb1EEEJEE20DeviceInvokerFactoryINS0_29HoldHipDeviceXThreadblockLoopINS_17TypedRangeSegmentIllEEN8rajaperf4comm9HALO_base8UnPackerElJEEEEEEEvPNT_10value_typeESP_
	.p2align	8
	.type	_ZN4RAJA6detail3hip16get_value_globalINS0_10DispatcherILN4camp9resources2v18PlatformE8ENS_6policy9workgroup31indirect_function_call_dispatchENS8_3hip8hip_workILm1024ELb1EEEJEE20DeviceInvokerFactoryINS0_29HoldHipDeviceXThreadblockLoopINS_17TypedRangeSegmentIllEEN8rajaperf4comm9HALO_base8UnPackerElJEEEEEEEvPNT_10value_typeESP_,@function
_ZN4RAJA6detail3hip16get_value_globalINS0_10DispatcherILN4camp9resources2v18PlatformE8ENS_6policy9workgroup31indirect_function_call_dispatchENS8_3hip8hip_workILm1024ELb1EEEJEE20DeviceInvokerFactoryINS0_29HoldHipDeviceXThreadblockLoopINS_17TypedRangeSegmentIllEEN8rajaperf4comm9HALO_base8UnPackerElJEEEEEEEvPNT_10value_typeESP_: ; @_ZN4RAJA6detail3hip16get_value_globalINS0_10DispatcherILN4camp9resources2v18PlatformE8ENS_6policy9workgroup31indirect_function_call_dispatchENS8_3hip8hip_workILm1024ELb1EEEJEE20DeviceInvokerFactoryINS0_29HoldHipDeviceXThreadblockLoopINS_17TypedRangeSegmentIllEEN8rajaperf4comm9HALO_base8UnPackerElJEEEEEEEvPNT_10value_typeESP_
; %bb.0:
	s_load_dwordx2 s[0:1], s[4:5], 0x0
	s_getpc_b64 s[2:3]
	s_add_u32 s2, s2, _ZN4RAJA6detail10DispatcherILN4camp9resources2v18PlatformE8ENS_6policy9workgroup31indirect_function_call_dispatchENS6_3hip8hip_workILm1024ELb1EEEJEE15s_device_invokeINS0_29HoldHipDeviceXThreadblockLoopINS_17TypedRangeSegmentIllEEN8rajaperf4comm9HALO_base8UnPackerElJEEEEEvNS0_29DispatcherVoidConstPtrWrapperISB_EE@rel32@lo+4
	s_addc_u32 s3, s3, _ZN4RAJA6detail10DispatcherILN4camp9resources2v18PlatformE8ENS_6policy9workgroup31indirect_function_call_dispatchENS6_3hip8hip_workILm1024ELb1EEEJEE15s_device_invokeINS0_29HoldHipDeviceXThreadblockLoopINS_17TypedRangeSegmentIllEEN8rajaperf4comm9HALO_base8UnPackerElJEEEEEvNS0_29DispatcherVoidConstPtrWrapperISB_EE@rel32@hi+12
	v_mov_b32_e32 v0, s2
	v_mov_b32_e32 v2, 0
	v_mov_b32_e32 v1, s3
	s_waitcnt lgkmcnt(0)
	global_store_dwordx2 v2, v[0:1], s[0:1]
	s_endpgm
	.section	.rodata,"a",@progbits
	.p2align	6, 0x0
	.amdhsa_kernel _ZN4RAJA6detail3hip16get_value_globalINS0_10DispatcherILN4camp9resources2v18PlatformE8ENS_6policy9workgroup31indirect_function_call_dispatchENS8_3hip8hip_workILm1024ELb1EEEJEE20DeviceInvokerFactoryINS0_29HoldHipDeviceXThreadblockLoopINS_17TypedRangeSegmentIllEEN8rajaperf4comm9HALO_base8UnPackerElJEEEEEEEvPNT_10value_typeESP_
		.amdhsa_group_segment_fixed_size 0
		.amdhsa_private_segment_fixed_size 0
		.amdhsa_kernarg_size 12
		.amdhsa_user_sgpr_count 6
		.amdhsa_user_sgpr_private_segment_buffer 1
		.amdhsa_user_sgpr_dispatch_ptr 0
		.amdhsa_user_sgpr_queue_ptr 0
		.amdhsa_user_sgpr_kernarg_segment_ptr 1
		.amdhsa_user_sgpr_dispatch_id 0
		.amdhsa_user_sgpr_flat_scratch_init 0
		.amdhsa_user_sgpr_private_segment_size 0
		.amdhsa_uses_dynamic_stack 0
		.amdhsa_system_sgpr_private_segment_wavefront_offset 0
		.amdhsa_system_sgpr_workgroup_id_x 1
		.amdhsa_system_sgpr_workgroup_id_y 0
		.amdhsa_system_sgpr_workgroup_id_z 0
		.amdhsa_system_sgpr_workgroup_info 0
		.amdhsa_system_vgpr_workitem_id 0
		.amdhsa_next_free_vgpr 3
		.amdhsa_next_free_sgpr 6
		.amdhsa_reserve_vcc 0
		.amdhsa_reserve_flat_scratch 0
		.amdhsa_float_round_mode_32 0
		.amdhsa_float_round_mode_16_64 0
		.amdhsa_float_denorm_mode_32 3
		.amdhsa_float_denorm_mode_16_64 3
		.amdhsa_dx10_clamp 1
		.amdhsa_ieee_mode 1
		.amdhsa_fp16_overflow 0
		.amdhsa_exception_fp_ieee_invalid_op 0
		.amdhsa_exception_fp_denorm_src 0
		.amdhsa_exception_fp_ieee_div_zero 0
		.amdhsa_exception_fp_ieee_overflow 0
		.amdhsa_exception_fp_ieee_underflow 0
		.amdhsa_exception_fp_ieee_inexact 0
		.amdhsa_exception_int_div_zero 0
	.end_amdhsa_kernel
	.section	.text._ZN4RAJA6detail3hip16get_value_globalINS0_10DispatcherILN4camp9resources2v18PlatformE8ENS_6policy9workgroup31indirect_function_call_dispatchENS8_3hip8hip_workILm1024ELb1EEEJEE20DeviceInvokerFactoryINS0_29HoldHipDeviceXThreadblockLoopINS_17TypedRangeSegmentIllEEN8rajaperf4comm9HALO_base8UnPackerElJEEEEEEEvPNT_10value_typeESP_,"axG",@progbits,_ZN4RAJA6detail3hip16get_value_globalINS0_10DispatcherILN4camp9resources2v18PlatformE8ENS_6policy9workgroup31indirect_function_call_dispatchENS8_3hip8hip_workILm1024ELb1EEEJEE20DeviceInvokerFactoryINS0_29HoldHipDeviceXThreadblockLoopINS_17TypedRangeSegmentIllEEN8rajaperf4comm9HALO_base8UnPackerElJEEEEEEEvPNT_10value_typeESP_,comdat
.Lfunc_end6:
	.size	_ZN4RAJA6detail3hip16get_value_globalINS0_10DispatcherILN4camp9resources2v18PlatformE8ENS_6policy9workgroup31indirect_function_call_dispatchENS8_3hip8hip_workILm1024ELb1EEEJEE20DeviceInvokerFactoryINS0_29HoldHipDeviceXThreadblockLoopINS_17TypedRangeSegmentIllEEN8rajaperf4comm9HALO_base8UnPackerElJEEEEEEEvPNT_10value_typeESP_, .Lfunc_end6-_ZN4RAJA6detail3hip16get_value_globalINS0_10DispatcherILN4camp9resources2v18PlatformE8ENS_6policy9workgroup31indirect_function_call_dispatchENS8_3hip8hip_workILm1024ELb1EEEJEE20DeviceInvokerFactoryINS0_29HoldHipDeviceXThreadblockLoopINS_17TypedRangeSegmentIllEEN8rajaperf4comm9HALO_base8UnPackerElJEEEEEEEvPNT_10value_typeESP_
                                        ; -- End function
	.set _ZN4RAJA6detail3hip16get_value_globalINS0_10DispatcherILN4camp9resources2v18PlatformE8ENS_6policy9workgroup31indirect_function_call_dispatchENS8_3hip8hip_workILm1024ELb1EEEJEE20DeviceInvokerFactoryINS0_29HoldHipDeviceXThreadblockLoopINS_17TypedRangeSegmentIllEEN8rajaperf4comm9HALO_base8UnPackerElJEEEEEEEvPNT_10value_typeESP_.num_vgpr, 3
	.set _ZN4RAJA6detail3hip16get_value_globalINS0_10DispatcherILN4camp9resources2v18PlatformE8ENS_6policy9workgroup31indirect_function_call_dispatchENS8_3hip8hip_workILm1024ELb1EEEJEE20DeviceInvokerFactoryINS0_29HoldHipDeviceXThreadblockLoopINS_17TypedRangeSegmentIllEEN8rajaperf4comm9HALO_base8UnPackerElJEEEEEEEvPNT_10value_typeESP_.num_agpr, 0
	.set _ZN4RAJA6detail3hip16get_value_globalINS0_10DispatcherILN4camp9resources2v18PlatformE8ENS_6policy9workgroup31indirect_function_call_dispatchENS8_3hip8hip_workILm1024ELb1EEEJEE20DeviceInvokerFactoryINS0_29HoldHipDeviceXThreadblockLoopINS_17TypedRangeSegmentIllEEN8rajaperf4comm9HALO_base8UnPackerElJEEEEEEEvPNT_10value_typeESP_.numbered_sgpr, 6
	.set _ZN4RAJA6detail3hip16get_value_globalINS0_10DispatcherILN4camp9resources2v18PlatformE8ENS_6policy9workgroup31indirect_function_call_dispatchENS8_3hip8hip_workILm1024ELb1EEEJEE20DeviceInvokerFactoryINS0_29HoldHipDeviceXThreadblockLoopINS_17TypedRangeSegmentIllEEN8rajaperf4comm9HALO_base8UnPackerElJEEEEEEEvPNT_10value_typeESP_.num_named_barrier, 0
	.set _ZN4RAJA6detail3hip16get_value_globalINS0_10DispatcherILN4camp9resources2v18PlatformE8ENS_6policy9workgroup31indirect_function_call_dispatchENS8_3hip8hip_workILm1024ELb1EEEJEE20DeviceInvokerFactoryINS0_29HoldHipDeviceXThreadblockLoopINS_17TypedRangeSegmentIllEEN8rajaperf4comm9HALO_base8UnPackerElJEEEEEEEvPNT_10value_typeESP_.private_seg_size, 0
	.set _ZN4RAJA6detail3hip16get_value_globalINS0_10DispatcherILN4camp9resources2v18PlatformE8ENS_6policy9workgroup31indirect_function_call_dispatchENS8_3hip8hip_workILm1024ELb1EEEJEE20DeviceInvokerFactoryINS0_29HoldHipDeviceXThreadblockLoopINS_17TypedRangeSegmentIllEEN8rajaperf4comm9HALO_base8UnPackerElJEEEEEEEvPNT_10value_typeESP_.uses_vcc, 0
	.set _ZN4RAJA6detail3hip16get_value_globalINS0_10DispatcherILN4camp9resources2v18PlatformE8ENS_6policy9workgroup31indirect_function_call_dispatchENS8_3hip8hip_workILm1024ELb1EEEJEE20DeviceInvokerFactoryINS0_29HoldHipDeviceXThreadblockLoopINS_17TypedRangeSegmentIllEEN8rajaperf4comm9HALO_base8UnPackerElJEEEEEEEvPNT_10value_typeESP_.uses_flat_scratch, 0
	.set _ZN4RAJA6detail3hip16get_value_globalINS0_10DispatcherILN4camp9resources2v18PlatformE8ENS_6policy9workgroup31indirect_function_call_dispatchENS8_3hip8hip_workILm1024ELb1EEEJEE20DeviceInvokerFactoryINS0_29HoldHipDeviceXThreadblockLoopINS_17TypedRangeSegmentIllEEN8rajaperf4comm9HALO_base8UnPackerElJEEEEEEEvPNT_10value_typeESP_.has_dyn_sized_stack, 0
	.set _ZN4RAJA6detail3hip16get_value_globalINS0_10DispatcherILN4camp9resources2v18PlatformE8ENS_6policy9workgroup31indirect_function_call_dispatchENS8_3hip8hip_workILm1024ELb1EEEJEE20DeviceInvokerFactoryINS0_29HoldHipDeviceXThreadblockLoopINS_17TypedRangeSegmentIllEEN8rajaperf4comm9HALO_base8UnPackerElJEEEEEEEvPNT_10value_typeESP_.has_recursion, 0
	.set _ZN4RAJA6detail3hip16get_value_globalINS0_10DispatcherILN4camp9resources2v18PlatformE8ENS_6policy9workgroup31indirect_function_call_dispatchENS8_3hip8hip_workILm1024ELb1EEEJEE20DeviceInvokerFactoryINS0_29HoldHipDeviceXThreadblockLoopINS_17TypedRangeSegmentIllEEN8rajaperf4comm9HALO_base8UnPackerElJEEEEEEEvPNT_10value_typeESP_.has_indirect_call, 0
	.section	.AMDGPU.csdata,"",@progbits
; Kernel info:
; codeLenInByte = 56
; TotalNumSgprs: 10
; NumVgprs: 3
; ScratchSize: 0
; MemoryBound: 0
; FloatMode: 240
; IeeeMode: 1
; LDSByteSize: 0 bytes/workgroup (compile time only)
; SGPRBlocks: 1
; VGPRBlocks: 0
; NumSGPRsForWavesPerEU: 10
; NumVGPRsForWavesPerEU: 3
; Occupancy: 10
; WaveLimiterHint : 0
; COMPUTE_PGM_RSRC2:SCRATCH_EN: 0
; COMPUTE_PGM_RSRC2:USER_SGPR: 6
; COMPUTE_PGM_RSRC2:TRAP_HANDLER: 0
; COMPUTE_PGM_RSRC2:TGID_X_EN: 1
; COMPUTE_PGM_RSRC2:TGID_Y_EN: 0
; COMPUTE_PGM_RSRC2:TGID_Z_EN: 0
; COMPUTE_PGM_RSRC2:TIDIG_COMP_CNT: 0
	.text
	.p2align	2                               ; -- Begin function _ZN4RAJA6detail10DispatcherILN4camp9resources2v18PlatformE8ENS_6policy9workgroup31indirect_function_call_dispatchENS6_3hip8hip_workILm1024ELb1EEEJEE15s_device_invokeINS0_29HoldHipDeviceXThreadblockLoopINS_17TypedRangeSegmentIllEEN8rajaperf4comm9HALO_base8UnPackerElJEEEEEvNS0_29DispatcherVoidConstPtrWrapperISB_EE
	.type	_ZN4RAJA6detail10DispatcherILN4camp9resources2v18PlatformE8ENS_6policy9workgroup31indirect_function_call_dispatchENS6_3hip8hip_workILm1024ELb1EEEJEE15s_device_invokeINS0_29HoldHipDeviceXThreadblockLoopINS_17TypedRangeSegmentIllEEN8rajaperf4comm9HALO_base8UnPackerElJEEEEEvNS0_29DispatcherVoidConstPtrWrapperISB_EE,@function
_ZN4RAJA6detail10DispatcherILN4camp9resources2v18PlatformE8ENS_6policy9workgroup31indirect_function_call_dispatchENS6_3hip8hip_workILm1024ELb1EEEJEE15s_device_invokeINS0_29HoldHipDeviceXThreadblockLoopINS_17TypedRangeSegmentIllEEN8rajaperf4comm9HALO_base8UnPackerElJEEEEEvNS0_29DispatcherVoidConstPtrWrapperISB_EE: ; @_ZN4RAJA6detail10DispatcherILN4camp9resources2v18PlatformE8ENS_6policy9workgroup31indirect_function_call_dispatchENS6_3hip8hip_workILm1024ELb1EEEJEE15s_device_invokeINS0_29HoldHipDeviceXThreadblockLoopINS_17TypedRangeSegmentIllEEN8rajaperf4comm9HALO_base8UnPackerElJEEEEEvNS0_29DispatcherVoidConstPtrWrapperISB_EE
; %bb.0:
	s_waitcnt vmcnt(0) expcnt(0) lgkmcnt(0)
	s_load_dword s4, s[8:9], 0x0
	v_mov_b32_e32 v11, 0
	v_and_b32_e32 v3, 0x3ff, v31
	s_waitcnt lgkmcnt(0)
	s_cmp_lt_u32 s12, s4
	s_cselect_b32 s5, 12, 18
	s_add_u32 s6, s8, s5
	s_addc_u32 s7, s9, 0
	global_load_ushort v12, v11, s[6:7]
	flat_load_dwordx4 v[6:9], v[0:1]
	s_waitcnt vmcnt(0)
	v_mul_lo_u32 v2, s12, v12
	s_waitcnt lgkmcnt(0)
	v_sub_co_u32_e32 v8, vcc, v8, v6
	v_subb_co_u32_e32 v9, vcc, v9, v7, vcc
	v_add_u32_e32 v10, v2, v3
	v_cmp_gt_i64_e32 vcc, v[8:9], v[10:11]
	s_and_saveexec_b64 s[6:7], vcc
	s_cbranch_execz .LBB7_3
; %bb.1:
	flat_load_dwordx2 v[14:15], v[0:1] offset:32
	flat_load_dwordx4 v[2:5], v[0:1] offset:16
	s_load_dword s5, s[8:9], 0x10
	v_add_co_u32_e32 v6, vcc, v6, v10
	v_addc_co_u32_e32 v7, vcc, 0, v7, vcc
	s_waitcnt lgkmcnt(0)
	s_lshr_b32 s5, s5, 16
	s_cmp_lg_u32 s5, 0
	s_cselect_b64 s[8:9], -1, 0
	s_cmp_lg_u64 s[8:9], 0
	s_addc_u32 s4, s4, 0
	v_mul_lo_u32 v0, s4, v12
	v_lshlrev_b64 v[16:17], 2, v[6:7]
	v_lshlrev_b64 v[18:19], 3, v[6:7]
	v_mov_b32_e32 v1, v11
	v_lshlrev_b64 v[6:7], 2, v[0:1]
	v_lshlrev_b64 v[12:13], 3, v[0:1]
	s_mov_b64 s[8:9], 0
	s_waitcnt vmcnt(0)
	v_add_co_u32_e32 v14, vcc, v14, v16
	v_addc_co_u32_e32 v15, vcc, v15, v17, vcc
	v_add_co_u32_e32 v1, vcc, v2, v18
	v_addc_co_u32_e32 v2, vcc, v3, v19, vcc
.LBB7_2:                                ; =>This Inner Loop Header: Depth=1
	flat_load_dword v16, v[14:15]
	flat_load_dwordx2 v[18:19], v[1:2]
	s_waitcnt vmcnt(0) lgkmcnt(0)
	v_ashrrev_i32_e32 v17, 31, v16
	v_lshlrev_b64 v[16:17], 3, v[16:17]
	v_add_co_u32_e32 v16, vcc, v4, v16
	v_addc_co_u32_e32 v17, vcc, v5, v17, vcc
	v_add_co_u32_e32 v10, vcc, v10, v0
	v_addc_co_u32_e32 v11, vcc, 0, v11, vcc
	;; [unrolled: 2-line block ×3, first 2 shown]
	v_cmp_ge_i64_e64 s[4:5], v[10:11], v[8:9]
	v_add_co_u32_e32 v1, vcc, v1, v12
	s_or_b64 s[8:9], s[4:5], s[8:9]
	v_addc_co_u32_e32 v2, vcc, v2, v13, vcc
	flat_store_dwordx2 v[16:17], v[18:19]
	s_andn2_b64 exec, exec, s[8:9]
	s_cbranch_execnz .LBB7_2
.LBB7_3:
	s_or_b64 exec, exec, s[6:7]
	s_waitcnt vmcnt(0) lgkmcnt(0)
	s_setpc_b64 s[30:31]
.Lfunc_end7:
	.size	_ZN4RAJA6detail10DispatcherILN4camp9resources2v18PlatformE8ENS_6policy9workgroup31indirect_function_call_dispatchENS6_3hip8hip_workILm1024ELb1EEEJEE15s_device_invokeINS0_29HoldHipDeviceXThreadblockLoopINS_17TypedRangeSegmentIllEEN8rajaperf4comm9HALO_base8UnPackerElJEEEEEvNS0_29DispatcherVoidConstPtrWrapperISB_EE, .Lfunc_end7-_ZN4RAJA6detail10DispatcherILN4camp9resources2v18PlatformE8ENS_6policy9workgroup31indirect_function_call_dispatchENS6_3hip8hip_workILm1024ELb1EEEJEE15s_device_invokeINS0_29HoldHipDeviceXThreadblockLoopINS_17TypedRangeSegmentIllEEN8rajaperf4comm9HALO_base8UnPackerElJEEEEEvNS0_29DispatcherVoidConstPtrWrapperISB_EE
                                        ; -- End function
	.set .L_ZN4RAJA6detail10DispatcherILN4camp9resources2v18PlatformE8ENS_6policy9workgroup31indirect_function_call_dispatchENS6_3hip8hip_workILm1024ELb1EEEJEE15s_device_invokeINS0_29HoldHipDeviceXThreadblockLoopINS_17TypedRangeSegmentIllEEN8rajaperf4comm9HALO_base8UnPackerElJEEEEEvNS0_29DispatcherVoidConstPtrWrapperISB_EE.num_vgpr, 32
	.set .L_ZN4RAJA6detail10DispatcherILN4camp9resources2v18PlatformE8ENS_6policy9workgroup31indirect_function_call_dispatchENS6_3hip8hip_workILm1024ELb1EEEJEE15s_device_invokeINS0_29HoldHipDeviceXThreadblockLoopINS_17TypedRangeSegmentIllEEN8rajaperf4comm9HALO_base8UnPackerElJEEEEEvNS0_29DispatcherVoidConstPtrWrapperISB_EE.num_agpr, 0
	.set .L_ZN4RAJA6detail10DispatcherILN4camp9resources2v18PlatformE8ENS_6policy9workgroup31indirect_function_call_dispatchENS6_3hip8hip_workILm1024ELb1EEEJEE15s_device_invokeINS0_29HoldHipDeviceXThreadblockLoopINS_17TypedRangeSegmentIllEEN8rajaperf4comm9HALO_base8UnPackerElJEEEEEvNS0_29DispatcherVoidConstPtrWrapperISB_EE.numbered_sgpr, 32
	.set .L_ZN4RAJA6detail10DispatcherILN4camp9resources2v18PlatformE8ENS_6policy9workgroup31indirect_function_call_dispatchENS6_3hip8hip_workILm1024ELb1EEEJEE15s_device_invokeINS0_29HoldHipDeviceXThreadblockLoopINS_17TypedRangeSegmentIllEEN8rajaperf4comm9HALO_base8UnPackerElJEEEEEvNS0_29DispatcherVoidConstPtrWrapperISB_EE.num_named_barrier, 0
	.set .L_ZN4RAJA6detail10DispatcherILN4camp9resources2v18PlatformE8ENS_6policy9workgroup31indirect_function_call_dispatchENS6_3hip8hip_workILm1024ELb1EEEJEE15s_device_invokeINS0_29HoldHipDeviceXThreadblockLoopINS_17TypedRangeSegmentIllEEN8rajaperf4comm9HALO_base8UnPackerElJEEEEEvNS0_29DispatcherVoidConstPtrWrapperISB_EE.private_seg_size, 0
	.set .L_ZN4RAJA6detail10DispatcherILN4camp9resources2v18PlatformE8ENS_6policy9workgroup31indirect_function_call_dispatchENS6_3hip8hip_workILm1024ELb1EEEJEE15s_device_invokeINS0_29HoldHipDeviceXThreadblockLoopINS_17TypedRangeSegmentIllEEN8rajaperf4comm9HALO_base8UnPackerElJEEEEEvNS0_29DispatcherVoidConstPtrWrapperISB_EE.uses_vcc, 1
	.set .L_ZN4RAJA6detail10DispatcherILN4camp9resources2v18PlatformE8ENS_6policy9workgroup31indirect_function_call_dispatchENS6_3hip8hip_workILm1024ELb1EEEJEE15s_device_invokeINS0_29HoldHipDeviceXThreadblockLoopINS_17TypedRangeSegmentIllEEN8rajaperf4comm9HALO_base8UnPackerElJEEEEEvNS0_29DispatcherVoidConstPtrWrapperISB_EE.uses_flat_scratch, 0
	.set .L_ZN4RAJA6detail10DispatcherILN4camp9resources2v18PlatformE8ENS_6policy9workgroup31indirect_function_call_dispatchENS6_3hip8hip_workILm1024ELb1EEEJEE15s_device_invokeINS0_29HoldHipDeviceXThreadblockLoopINS_17TypedRangeSegmentIllEEN8rajaperf4comm9HALO_base8UnPackerElJEEEEEvNS0_29DispatcherVoidConstPtrWrapperISB_EE.has_dyn_sized_stack, 0
	.set .L_ZN4RAJA6detail10DispatcherILN4camp9resources2v18PlatformE8ENS_6policy9workgroup31indirect_function_call_dispatchENS6_3hip8hip_workILm1024ELb1EEEJEE15s_device_invokeINS0_29HoldHipDeviceXThreadblockLoopINS_17TypedRangeSegmentIllEEN8rajaperf4comm9HALO_base8UnPackerElJEEEEEvNS0_29DispatcherVoidConstPtrWrapperISB_EE.has_recursion, 0
	.set .L_ZN4RAJA6detail10DispatcherILN4camp9resources2v18PlatformE8ENS_6policy9workgroup31indirect_function_call_dispatchENS6_3hip8hip_workILm1024ELb1EEEJEE15s_device_invokeINS0_29HoldHipDeviceXThreadblockLoopINS_17TypedRangeSegmentIllEEN8rajaperf4comm9HALO_base8UnPackerElJEEEEEvNS0_29DispatcherVoidConstPtrWrapperISB_EE.has_indirect_call, 0
	.section	.AMDGPU.csdata,"",@progbits
; Function info:
; codeLenInByte = 328
; TotalNumSgprs: 36
; NumVgprs: 32
; ScratchSize: 0
; MemoryBound: 0
	.section	.text._ZN4RAJA6detail3hip16get_value_globalINS0_10DispatcherILN4camp9resources2v18PlatformE8ENS_6policy9workgroup34indirect_virtual_function_dispatchENS8_3hip8hip_workILm1024ELb1EEEJEE21DeviceImplTypeFactoryINS0_29HoldHipDeviceXThreadblockLoopINS_17TypedRangeSegmentIllEEN8rajaperf4comm9HALO_base6PackerElJEEEEEEEvPNT_10value_typeESP_,"axG",@progbits,_ZN4RAJA6detail3hip16get_value_globalINS0_10DispatcherILN4camp9resources2v18PlatformE8ENS_6policy9workgroup34indirect_virtual_function_dispatchENS8_3hip8hip_workILm1024ELb1EEEJEE21DeviceImplTypeFactoryINS0_29HoldHipDeviceXThreadblockLoopINS_17TypedRangeSegmentIllEEN8rajaperf4comm9HALO_base6PackerElJEEEEEEEvPNT_10value_typeESP_,comdat
	.protected	_ZN4RAJA6detail3hip16get_value_globalINS0_10DispatcherILN4camp9resources2v18PlatformE8ENS_6policy9workgroup34indirect_virtual_function_dispatchENS8_3hip8hip_workILm1024ELb1EEEJEE21DeviceImplTypeFactoryINS0_29HoldHipDeviceXThreadblockLoopINS_17TypedRangeSegmentIllEEN8rajaperf4comm9HALO_base6PackerElJEEEEEEEvPNT_10value_typeESP_ ; -- Begin function _ZN4RAJA6detail3hip16get_value_globalINS0_10DispatcherILN4camp9resources2v18PlatformE8ENS_6policy9workgroup34indirect_virtual_function_dispatchENS8_3hip8hip_workILm1024ELb1EEEJEE21DeviceImplTypeFactoryINS0_29HoldHipDeviceXThreadblockLoopINS_17TypedRangeSegmentIllEEN8rajaperf4comm9HALO_base6PackerElJEEEEEEEvPNT_10value_typeESP_
	.globl	_ZN4RAJA6detail3hip16get_value_globalINS0_10DispatcherILN4camp9resources2v18PlatformE8ENS_6policy9workgroup34indirect_virtual_function_dispatchENS8_3hip8hip_workILm1024ELb1EEEJEE21DeviceImplTypeFactoryINS0_29HoldHipDeviceXThreadblockLoopINS_17TypedRangeSegmentIllEEN8rajaperf4comm9HALO_base6PackerElJEEEEEEEvPNT_10value_typeESP_
	.p2align	8
	.type	_ZN4RAJA6detail3hip16get_value_globalINS0_10DispatcherILN4camp9resources2v18PlatformE8ENS_6policy9workgroup34indirect_virtual_function_dispatchENS8_3hip8hip_workILm1024ELb1EEEJEE21DeviceImplTypeFactoryINS0_29HoldHipDeviceXThreadblockLoopINS_17TypedRangeSegmentIllEEN8rajaperf4comm9HALO_base6PackerElJEEEEEEEvPNT_10value_typeESP_,@function
_ZN4RAJA6detail3hip16get_value_globalINS0_10DispatcherILN4camp9resources2v18PlatformE8ENS_6policy9workgroup34indirect_virtual_function_dispatchENS8_3hip8hip_workILm1024ELb1EEEJEE21DeviceImplTypeFactoryINS0_29HoldHipDeviceXThreadblockLoopINS_17TypedRangeSegmentIllEEN8rajaperf4comm9HALO_base6PackerElJEEEEEEEvPNT_10value_typeESP_: ; @_ZN4RAJA6detail3hip16get_value_globalINS0_10DispatcherILN4camp9resources2v18PlatformE8ENS_6policy9workgroup34indirect_virtual_function_dispatchENS8_3hip8hip_workILm1024ELb1EEEJEE21DeviceImplTypeFactoryINS0_29HoldHipDeviceXThreadblockLoopINS_17TypedRangeSegmentIllEEN8rajaperf4comm9HALO_base6PackerElJEEEEEEEvPNT_10value_typeESP_
; %bb.0:
	s_load_dwordx2 s[0:1], s[4:5], 0x0
	s_getpc_b64 s[2:3]
	s_add_u32 s2, s2, _ZZN4RAJA6detail10DispatcherILN4camp9resources2v18PlatformE8ENS_6policy9workgroup34indirect_virtual_function_dispatchENS6_3hip8hip_workILm1024ELb1EEEJEE21DeviceImplTypeFactoryINS0_29HoldHipDeviceXThreadblockLoopINS_17TypedRangeSegmentIllEEN8rajaperf4comm9HALO_base6PackerElJEEEEclEvE13s_device_impl@rel32@lo+4
	s_addc_u32 s3, s3, _ZZN4RAJA6detail10DispatcherILN4camp9resources2v18PlatformE8ENS_6policy9workgroup34indirect_virtual_function_dispatchENS6_3hip8hip_workILm1024ELb1EEEJEE21DeviceImplTypeFactoryINS0_29HoldHipDeviceXThreadblockLoopINS_17TypedRangeSegmentIllEEN8rajaperf4comm9HALO_base6PackerElJEEEEclEvE13s_device_impl@rel32@hi+12
	v_mov_b32_e32 v0, s2
	v_mov_b32_e32 v2, 0
	;; [unrolled: 1-line block ×3, first 2 shown]
	s_waitcnt lgkmcnt(0)
	global_store_dwordx2 v2, v[0:1], s[0:1]
	s_endpgm
	.section	.rodata,"a",@progbits
	.p2align	6, 0x0
	.amdhsa_kernel _ZN4RAJA6detail3hip16get_value_globalINS0_10DispatcherILN4camp9resources2v18PlatformE8ENS_6policy9workgroup34indirect_virtual_function_dispatchENS8_3hip8hip_workILm1024ELb1EEEJEE21DeviceImplTypeFactoryINS0_29HoldHipDeviceXThreadblockLoopINS_17TypedRangeSegmentIllEEN8rajaperf4comm9HALO_base6PackerElJEEEEEEEvPNT_10value_typeESP_
		.amdhsa_group_segment_fixed_size 0
		.amdhsa_private_segment_fixed_size 0
		.amdhsa_kernarg_size 12
		.amdhsa_user_sgpr_count 6
		.amdhsa_user_sgpr_private_segment_buffer 1
		.amdhsa_user_sgpr_dispatch_ptr 0
		.amdhsa_user_sgpr_queue_ptr 0
		.amdhsa_user_sgpr_kernarg_segment_ptr 1
		.amdhsa_user_sgpr_dispatch_id 0
		.amdhsa_user_sgpr_flat_scratch_init 0
		.amdhsa_user_sgpr_private_segment_size 0
		.amdhsa_uses_dynamic_stack 0
		.amdhsa_system_sgpr_private_segment_wavefront_offset 0
		.amdhsa_system_sgpr_workgroup_id_x 1
		.amdhsa_system_sgpr_workgroup_id_y 0
		.amdhsa_system_sgpr_workgroup_id_z 0
		.amdhsa_system_sgpr_workgroup_info 0
		.amdhsa_system_vgpr_workitem_id 0
		.amdhsa_next_free_vgpr 3
		.amdhsa_next_free_sgpr 6
		.amdhsa_reserve_vcc 0
		.amdhsa_reserve_flat_scratch 0
		.amdhsa_float_round_mode_32 0
		.amdhsa_float_round_mode_16_64 0
		.amdhsa_float_denorm_mode_32 3
		.amdhsa_float_denorm_mode_16_64 3
		.amdhsa_dx10_clamp 1
		.amdhsa_ieee_mode 1
		.amdhsa_fp16_overflow 0
		.amdhsa_exception_fp_ieee_invalid_op 0
		.amdhsa_exception_fp_denorm_src 0
		.amdhsa_exception_fp_ieee_div_zero 0
		.amdhsa_exception_fp_ieee_overflow 0
		.amdhsa_exception_fp_ieee_underflow 0
		.amdhsa_exception_fp_ieee_inexact 0
		.amdhsa_exception_int_div_zero 0
	.end_amdhsa_kernel
	.section	.text._ZN4RAJA6detail3hip16get_value_globalINS0_10DispatcherILN4camp9resources2v18PlatformE8ENS_6policy9workgroup34indirect_virtual_function_dispatchENS8_3hip8hip_workILm1024ELb1EEEJEE21DeviceImplTypeFactoryINS0_29HoldHipDeviceXThreadblockLoopINS_17TypedRangeSegmentIllEEN8rajaperf4comm9HALO_base6PackerElJEEEEEEEvPNT_10value_typeESP_,"axG",@progbits,_ZN4RAJA6detail3hip16get_value_globalINS0_10DispatcherILN4camp9resources2v18PlatformE8ENS_6policy9workgroup34indirect_virtual_function_dispatchENS8_3hip8hip_workILm1024ELb1EEEJEE21DeviceImplTypeFactoryINS0_29HoldHipDeviceXThreadblockLoopINS_17TypedRangeSegmentIllEEN8rajaperf4comm9HALO_base6PackerElJEEEEEEEvPNT_10value_typeESP_,comdat
.Lfunc_end8:
	.size	_ZN4RAJA6detail3hip16get_value_globalINS0_10DispatcherILN4camp9resources2v18PlatformE8ENS_6policy9workgroup34indirect_virtual_function_dispatchENS8_3hip8hip_workILm1024ELb1EEEJEE21DeviceImplTypeFactoryINS0_29HoldHipDeviceXThreadblockLoopINS_17TypedRangeSegmentIllEEN8rajaperf4comm9HALO_base6PackerElJEEEEEEEvPNT_10value_typeESP_, .Lfunc_end8-_ZN4RAJA6detail3hip16get_value_globalINS0_10DispatcherILN4camp9resources2v18PlatformE8ENS_6policy9workgroup34indirect_virtual_function_dispatchENS8_3hip8hip_workILm1024ELb1EEEJEE21DeviceImplTypeFactoryINS0_29HoldHipDeviceXThreadblockLoopINS_17TypedRangeSegmentIllEEN8rajaperf4comm9HALO_base6PackerElJEEEEEEEvPNT_10value_typeESP_
                                        ; -- End function
	.set _ZN4RAJA6detail3hip16get_value_globalINS0_10DispatcherILN4camp9resources2v18PlatformE8ENS_6policy9workgroup34indirect_virtual_function_dispatchENS8_3hip8hip_workILm1024ELb1EEEJEE21DeviceImplTypeFactoryINS0_29HoldHipDeviceXThreadblockLoopINS_17TypedRangeSegmentIllEEN8rajaperf4comm9HALO_base6PackerElJEEEEEEEvPNT_10value_typeESP_.num_vgpr, 3
	.set _ZN4RAJA6detail3hip16get_value_globalINS0_10DispatcherILN4camp9resources2v18PlatformE8ENS_6policy9workgroup34indirect_virtual_function_dispatchENS8_3hip8hip_workILm1024ELb1EEEJEE21DeviceImplTypeFactoryINS0_29HoldHipDeviceXThreadblockLoopINS_17TypedRangeSegmentIllEEN8rajaperf4comm9HALO_base6PackerElJEEEEEEEvPNT_10value_typeESP_.num_agpr, 0
	.set _ZN4RAJA6detail3hip16get_value_globalINS0_10DispatcherILN4camp9resources2v18PlatformE8ENS_6policy9workgroup34indirect_virtual_function_dispatchENS8_3hip8hip_workILm1024ELb1EEEJEE21DeviceImplTypeFactoryINS0_29HoldHipDeviceXThreadblockLoopINS_17TypedRangeSegmentIllEEN8rajaperf4comm9HALO_base6PackerElJEEEEEEEvPNT_10value_typeESP_.numbered_sgpr, 6
	.set _ZN4RAJA6detail3hip16get_value_globalINS0_10DispatcherILN4camp9resources2v18PlatformE8ENS_6policy9workgroup34indirect_virtual_function_dispatchENS8_3hip8hip_workILm1024ELb1EEEJEE21DeviceImplTypeFactoryINS0_29HoldHipDeviceXThreadblockLoopINS_17TypedRangeSegmentIllEEN8rajaperf4comm9HALO_base6PackerElJEEEEEEEvPNT_10value_typeESP_.num_named_barrier, 0
	.set _ZN4RAJA6detail3hip16get_value_globalINS0_10DispatcherILN4camp9resources2v18PlatformE8ENS_6policy9workgroup34indirect_virtual_function_dispatchENS8_3hip8hip_workILm1024ELb1EEEJEE21DeviceImplTypeFactoryINS0_29HoldHipDeviceXThreadblockLoopINS_17TypedRangeSegmentIllEEN8rajaperf4comm9HALO_base6PackerElJEEEEEEEvPNT_10value_typeESP_.private_seg_size, 0
	.set _ZN4RAJA6detail3hip16get_value_globalINS0_10DispatcherILN4camp9resources2v18PlatformE8ENS_6policy9workgroup34indirect_virtual_function_dispatchENS8_3hip8hip_workILm1024ELb1EEEJEE21DeviceImplTypeFactoryINS0_29HoldHipDeviceXThreadblockLoopINS_17TypedRangeSegmentIllEEN8rajaperf4comm9HALO_base6PackerElJEEEEEEEvPNT_10value_typeESP_.uses_vcc, 0
	.set _ZN4RAJA6detail3hip16get_value_globalINS0_10DispatcherILN4camp9resources2v18PlatformE8ENS_6policy9workgroup34indirect_virtual_function_dispatchENS8_3hip8hip_workILm1024ELb1EEEJEE21DeviceImplTypeFactoryINS0_29HoldHipDeviceXThreadblockLoopINS_17TypedRangeSegmentIllEEN8rajaperf4comm9HALO_base6PackerElJEEEEEEEvPNT_10value_typeESP_.uses_flat_scratch, 0
	.set _ZN4RAJA6detail3hip16get_value_globalINS0_10DispatcherILN4camp9resources2v18PlatformE8ENS_6policy9workgroup34indirect_virtual_function_dispatchENS8_3hip8hip_workILm1024ELb1EEEJEE21DeviceImplTypeFactoryINS0_29HoldHipDeviceXThreadblockLoopINS_17TypedRangeSegmentIllEEN8rajaperf4comm9HALO_base6PackerElJEEEEEEEvPNT_10value_typeESP_.has_dyn_sized_stack, 0
	.set _ZN4RAJA6detail3hip16get_value_globalINS0_10DispatcherILN4camp9resources2v18PlatformE8ENS_6policy9workgroup34indirect_virtual_function_dispatchENS8_3hip8hip_workILm1024ELb1EEEJEE21DeviceImplTypeFactoryINS0_29HoldHipDeviceXThreadblockLoopINS_17TypedRangeSegmentIllEEN8rajaperf4comm9HALO_base6PackerElJEEEEEEEvPNT_10value_typeESP_.has_recursion, 0
	.set _ZN4RAJA6detail3hip16get_value_globalINS0_10DispatcherILN4camp9resources2v18PlatformE8ENS_6policy9workgroup34indirect_virtual_function_dispatchENS8_3hip8hip_workILm1024ELb1EEEJEE21DeviceImplTypeFactoryINS0_29HoldHipDeviceXThreadblockLoopINS_17TypedRangeSegmentIllEEN8rajaperf4comm9HALO_base6PackerElJEEEEEEEvPNT_10value_typeESP_.has_indirect_call, 0
	.section	.AMDGPU.csdata,"",@progbits
; Kernel info:
; codeLenInByte = 56
; TotalNumSgprs: 10
; NumVgprs: 3
; ScratchSize: 0
; MemoryBound: 0
; FloatMode: 240
; IeeeMode: 1
; LDSByteSize: 0 bytes/workgroup (compile time only)
; SGPRBlocks: 1
; VGPRBlocks: 0
; NumSGPRsForWavesPerEU: 10
; NumVGPRsForWavesPerEU: 3
; Occupancy: 10
; WaveLimiterHint : 0
; COMPUTE_PGM_RSRC2:SCRATCH_EN: 0
; COMPUTE_PGM_RSRC2:USER_SGPR: 6
; COMPUTE_PGM_RSRC2:TRAP_HANDLER: 0
; COMPUTE_PGM_RSRC2:TGID_X_EN: 1
; COMPUTE_PGM_RSRC2:TGID_Y_EN: 0
; COMPUTE_PGM_RSRC2:TGID_Z_EN: 0
; COMPUTE_PGM_RSRC2:TIDIG_COMP_CNT: 0
	.text
	.p2align	2                               ; -- Begin function _ZNK4RAJA6detail10DispatcherILN4camp9resources2v18PlatformE8ENS_6policy9workgroup34indirect_virtual_function_dispatchENS6_3hip8hip_workILm1024ELb1EEEJEE16device_impl_typeINS0_29HoldHipDeviceXThreadblockLoopINS_17TypedRangeSegmentIllEEN8rajaperf4comm9HALO_base6PackerElJEEEE6invokeENS0_29DispatcherVoidConstPtrWrapperISB_EE
	.type	_ZNK4RAJA6detail10DispatcherILN4camp9resources2v18PlatformE8ENS_6policy9workgroup34indirect_virtual_function_dispatchENS6_3hip8hip_workILm1024ELb1EEEJEE16device_impl_typeINS0_29HoldHipDeviceXThreadblockLoopINS_17TypedRangeSegmentIllEEN8rajaperf4comm9HALO_base6PackerElJEEEE6invokeENS0_29DispatcherVoidConstPtrWrapperISB_EE,@function
_ZNK4RAJA6detail10DispatcherILN4camp9resources2v18PlatformE8ENS_6policy9workgroup34indirect_virtual_function_dispatchENS6_3hip8hip_workILm1024ELb1EEEJEE16device_impl_typeINS0_29HoldHipDeviceXThreadblockLoopINS_17TypedRangeSegmentIllEEN8rajaperf4comm9HALO_base6PackerElJEEEE6invokeENS0_29DispatcherVoidConstPtrWrapperISB_EE: ; @_ZNK4RAJA6detail10DispatcherILN4camp9resources2v18PlatformE8ENS_6policy9workgroup34indirect_virtual_function_dispatchENS6_3hip8hip_workILm1024ELb1EEEJEE16device_impl_typeINS0_29HoldHipDeviceXThreadblockLoopINS_17TypedRangeSegmentIllEEN8rajaperf4comm9HALO_base6PackerElJEEEE6invokeENS0_29DispatcherVoidConstPtrWrapperISB_EE
; %bb.0:
	s_waitcnt vmcnt(0) expcnt(0) lgkmcnt(0)
	s_load_dword s6, s[8:9], 0x0
	v_mov_b32_e32 v1, 0
	v_and_b32_e32 v4, 0x3ff, v31
	s_waitcnt lgkmcnt(0)
	s_cmp_lt_u32 s12, s6
	s_cselect_b32 s4, 12, 18
	s_add_u32 s4, s8, s4
	s_addc_u32 s5, s9, 0
	global_load_ushort v12, v1, s[4:5]
	flat_load_dwordx4 v[8:11], v[2:3]
	s_waitcnt vmcnt(0)
	v_mul_lo_u32 v0, s12, v12
	s_waitcnt lgkmcnt(0)
	v_sub_co_u32_e32 v10, vcc, v10, v8
	v_subb_co_u32_e32 v11, vcc, v11, v9, vcc
	v_add_u32_e32 v0, v0, v4
	v_cmp_gt_i64_e32 vcc, v[10:11], v[0:1]
	s_and_saveexec_b64 s[4:5], vcc
	s_cbranch_execz .LBB9_3
; %bb.1:
	flat_load_dwordx4 v[4:7], v[2:3] offset:16
	flat_load_dwordx2 v[14:15], v[2:3] offset:32
	s_load_dword s7, s[8:9], 0x10
	v_add_co_u32_e32 v8, vcc, v8, v0
	v_addc_co_u32_e32 v9, vcc, 0, v9, vcc
	s_waitcnt lgkmcnt(0)
	s_lshr_b32 s7, s7, 16
	s_cmp_lg_u32 s7, 0
	s_cselect_b64 s[8:9], -1, 0
	s_cmp_lg_u64 s[8:9], 0
	s_addc_u32 s6, s6, 0
	v_mul_lo_u32 v2, s6, v12
	v_lshlrev_b64 v[16:17], 3, v[8:9]
	v_mov_b32_e32 v3, v1
	v_lshlrev_b64 v[18:19], 2, v[8:9]
	v_lshlrev_b64 v[8:9], 3, v[2:3]
	;; [unrolled: 1-line block ×3, first 2 shown]
	s_mov_b64 s[6:7], 0
	s_waitcnt vmcnt(0)
	v_add_co_u32_e32 v3, vcc, v4, v16
	v_addc_co_u32_e32 v4, vcc, v5, v17, vcc
	v_add_co_u32_e32 v14, vcc, v14, v18
	v_addc_co_u32_e32 v15, vcc, v15, v19, vcc
.LBB9_2:                                ; =>This Inner Loop Header: Depth=1
	flat_load_dword v16, v[14:15]
	s_waitcnt vmcnt(0) lgkmcnt(0)
	v_ashrrev_i32_e32 v17, 31, v16
	v_lshlrev_b64 v[16:17], 3, v[16:17]
	v_add_co_u32_e32 v16, vcc, v6, v16
	v_addc_co_u32_e32 v17, vcc, v7, v17, vcc
	flat_load_dwordx2 v[16:17], v[16:17]
	v_add_co_u32_e32 v0, vcc, v0, v2
	v_addc_co_u32_e32 v1, vcc, 0, v1, vcc
	v_add_co_u32_e32 v14, vcc, v14, v12
	v_addc_co_u32_e32 v15, vcc, v15, v13, vcc
	v_cmp_ge_i64_e32 vcc, v[0:1], v[10:11]
	s_or_b64 s[6:7], vcc, s[6:7]
	s_waitcnt vmcnt(0) lgkmcnt(0)
	flat_store_dwordx2 v[3:4], v[16:17]
	v_add_co_u32_e32 v3, vcc, v3, v8
	v_addc_co_u32_e32 v4, vcc, v4, v9, vcc
	s_andn2_b64 exec, exec, s[6:7]
	s_cbranch_execnz .LBB9_2
.LBB9_3:
	s_or_b64 exec, exec, s[4:5]
	s_waitcnt vmcnt(0) lgkmcnt(0)
	s_setpc_b64 s[30:31]
.Lfunc_end9:
	.size	_ZNK4RAJA6detail10DispatcherILN4camp9resources2v18PlatformE8ENS_6policy9workgroup34indirect_virtual_function_dispatchENS6_3hip8hip_workILm1024ELb1EEEJEE16device_impl_typeINS0_29HoldHipDeviceXThreadblockLoopINS_17TypedRangeSegmentIllEEN8rajaperf4comm9HALO_base6PackerElJEEEE6invokeENS0_29DispatcherVoidConstPtrWrapperISB_EE, .Lfunc_end9-_ZNK4RAJA6detail10DispatcherILN4camp9resources2v18PlatformE8ENS_6policy9workgroup34indirect_virtual_function_dispatchENS6_3hip8hip_workILm1024ELb1EEEJEE16device_impl_typeINS0_29HoldHipDeviceXThreadblockLoopINS_17TypedRangeSegmentIllEEN8rajaperf4comm9HALO_base6PackerElJEEEE6invokeENS0_29DispatcherVoidConstPtrWrapperISB_EE
                                        ; -- End function
	.set .L_ZNK4RAJA6detail10DispatcherILN4camp9resources2v18PlatformE8ENS_6policy9workgroup34indirect_virtual_function_dispatchENS6_3hip8hip_workILm1024ELb1EEEJEE16device_impl_typeINS0_29HoldHipDeviceXThreadblockLoopINS_17TypedRangeSegmentIllEEN8rajaperf4comm9HALO_base6PackerElJEEEE6invokeENS0_29DispatcherVoidConstPtrWrapperISB_EE.num_vgpr, 32
	.set .L_ZNK4RAJA6detail10DispatcherILN4camp9resources2v18PlatformE8ENS_6policy9workgroup34indirect_virtual_function_dispatchENS6_3hip8hip_workILm1024ELb1EEEJEE16device_impl_typeINS0_29HoldHipDeviceXThreadblockLoopINS_17TypedRangeSegmentIllEEN8rajaperf4comm9HALO_base6PackerElJEEEE6invokeENS0_29DispatcherVoidConstPtrWrapperISB_EE.num_agpr, 0
	.set .L_ZNK4RAJA6detail10DispatcherILN4camp9resources2v18PlatformE8ENS_6policy9workgroup34indirect_virtual_function_dispatchENS6_3hip8hip_workILm1024ELb1EEEJEE16device_impl_typeINS0_29HoldHipDeviceXThreadblockLoopINS_17TypedRangeSegmentIllEEN8rajaperf4comm9HALO_base6PackerElJEEEE6invokeENS0_29DispatcherVoidConstPtrWrapperISB_EE.numbered_sgpr, 32
	.set .L_ZNK4RAJA6detail10DispatcherILN4camp9resources2v18PlatformE8ENS_6policy9workgroup34indirect_virtual_function_dispatchENS6_3hip8hip_workILm1024ELb1EEEJEE16device_impl_typeINS0_29HoldHipDeviceXThreadblockLoopINS_17TypedRangeSegmentIllEEN8rajaperf4comm9HALO_base6PackerElJEEEE6invokeENS0_29DispatcherVoidConstPtrWrapperISB_EE.num_named_barrier, 0
	.set .L_ZNK4RAJA6detail10DispatcherILN4camp9resources2v18PlatformE8ENS_6policy9workgroup34indirect_virtual_function_dispatchENS6_3hip8hip_workILm1024ELb1EEEJEE16device_impl_typeINS0_29HoldHipDeviceXThreadblockLoopINS_17TypedRangeSegmentIllEEN8rajaperf4comm9HALO_base6PackerElJEEEE6invokeENS0_29DispatcherVoidConstPtrWrapperISB_EE.private_seg_size, 0
	.set .L_ZNK4RAJA6detail10DispatcherILN4camp9resources2v18PlatformE8ENS_6policy9workgroup34indirect_virtual_function_dispatchENS6_3hip8hip_workILm1024ELb1EEEJEE16device_impl_typeINS0_29HoldHipDeviceXThreadblockLoopINS_17TypedRangeSegmentIllEEN8rajaperf4comm9HALO_base6PackerElJEEEE6invokeENS0_29DispatcherVoidConstPtrWrapperISB_EE.uses_vcc, 1
	.set .L_ZNK4RAJA6detail10DispatcherILN4camp9resources2v18PlatformE8ENS_6policy9workgroup34indirect_virtual_function_dispatchENS6_3hip8hip_workILm1024ELb1EEEJEE16device_impl_typeINS0_29HoldHipDeviceXThreadblockLoopINS_17TypedRangeSegmentIllEEN8rajaperf4comm9HALO_base6PackerElJEEEE6invokeENS0_29DispatcherVoidConstPtrWrapperISB_EE.uses_flat_scratch, 0
	.set .L_ZNK4RAJA6detail10DispatcherILN4camp9resources2v18PlatformE8ENS_6policy9workgroup34indirect_virtual_function_dispatchENS6_3hip8hip_workILm1024ELb1EEEJEE16device_impl_typeINS0_29HoldHipDeviceXThreadblockLoopINS_17TypedRangeSegmentIllEEN8rajaperf4comm9HALO_base6PackerElJEEEE6invokeENS0_29DispatcherVoidConstPtrWrapperISB_EE.has_dyn_sized_stack, 0
	.set .L_ZNK4RAJA6detail10DispatcherILN4camp9resources2v18PlatformE8ENS_6policy9workgroup34indirect_virtual_function_dispatchENS6_3hip8hip_workILm1024ELb1EEEJEE16device_impl_typeINS0_29HoldHipDeviceXThreadblockLoopINS_17TypedRangeSegmentIllEEN8rajaperf4comm9HALO_base6PackerElJEEEE6invokeENS0_29DispatcherVoidConstPtrWrapperISB_EE.has_recursion, 0
	.set .L_ZNK4RAJA6detail10DispatcherILN4camp9resources2v18PlatformE8ENS_6policy9workgroup34indirect_virtual_function_dispatchENS6_3hip8hip_workILm1024ELb1EEEJEE16device_impl_typeINS0_29HoldHipDeviceXThreadblockLoopINS_17TypedRangeSegmentIllEEN8rajaperf4comm9HALO_base6PackerElJEEEE6invokeENS0_29DispatcherVoidConstPtrWrapperISB_EE.has_indirect_call, 0
	.section	.AMDGPU.csdata,"",@progbits
; Function info:
; codeLenInByte = 328
; TotalNumSgprs: 36
; NumVgprs: 32
; ScratchSize: 0
; MemoryBound: 0
	.section	.text._ZN4RAJA6detail28hip_unordered_y_block_globalILm1024ENS0_22random_access_iteratorINS0_11WorkStorageINS_6policy9workgroup32constant_stride_array_of_objectsEN8rajaperf23RAJAPoolAllocatorHolderINS_13basic_mempool7MemPoolINS_3hip15PinnedAllocatorEEEE9AllocatorIcEENS0_10DispatcherILN4camp9resources2v18PlatformE8ENS5_34indirect_virtual_function_dispatchENS4_3hip8hip_workILm1024ELb1EEEJEEEE19const_iterator_baseEEENS0_10WorkStructILm16ESQ_EElJEEEvT0_DpT3_,"axG",@progbits,_ZN4RAJA6detail28hip_unordered_y_block_globalILm1024ENS0_22random_access_iteratorINS0_11WorkStorageINS_6policy9workgroup32constant_stride_array_of_objectsEN8rajaperf23RAJAPoolAllocatorHolderINS_13basic_mempool7MemPoolINS_3hip15PinnedAllocatorEEEE9AllocatorIcEENS0_10DispatcherILN4camp9resources2v18PlatformE8ENS5_34indirect_virtual_function_dispatchENS4_3hip8hip_workILm1024ELb1EEEJEEEE19const_iterator_baseEEENS0_10WorkStructILm16ESQ_EElJEEEvT0_DpT3_,comdat
	.protected	_ZN4RAJA6detail28hip_unordered_y_block_globalILm1024ENS0_22random_access_iteratorINS0_11WorkStorageINS_6policy9workgroup32constant_stride_array_of_objectsEN8rajaperf23RAJAPoolAllocatorHolderINS_13basic_mempool7MemPoolINS_3hip15PinnedAllocatorEEEE9AllocatorIcEENS0_10DispatcherILN4camp9resources2v18PlatformE8ENS5_34indirect_virtual_function_dispatchENS4_3hip8hip_workILm1024ELb1EEEJEEEE19const_iterator_baseEEENS0_10WorkStructILm16ESQ_EElJEEEvT0_DpT3_ ; -- Begin function _ZN4RAJA6detail28hip_unordered_y_block_globalILm1024ENS0_22random_access_iteratorINS0_11WorkStorageINS_6policy9workgroup32constant_stride_array_of_objectsEN8rajaperf23RAJAPoolAllocatorHolderINS_13basic_mempool7MemPoolINS_3hip15PinnedAllocatorEEEE9AllocatorIcEENS0_10DispatcherILN4camp9resources2v18PlatformE8ENS5_34indirect_virtual_function_dispatchENS4_3hip8hip_workILm1024ELb1EEEJEEEE19const_iterator_baseEEENS0_10WorkStructILm16ESQ_EElJEEEvT0_DpT3_
	.globl	_ZN4RAJA6detail28hip_unordered_y_block_globalILm1024ENS0_22random_access_iteratorINS0_11WorkStorageINS_6policy9workgroup32constant_stride_array_of_objectsEN8rajaperf23RAJAPoolAllocatorHolderINS_13basic_mempool7MemPoolINS_3hip15PinnedAllocatorEEEE9AllocatorIcEENS0_10DispatcherILN4camp9resources2v18PlatformE8ENS5_34indirect_virtual_function_dispatchENS4_3hip8hip_workILm1024ELb1EEEJEEEE19const_iterator_baseEEENS0_10WorkStructILm16ESQ_EElJEEEvT0_DpT3_
	.p2align	8
	.type	_ZN4RAJA6detail28hip_unordered_y_block_globalILm1024ENS0_22random_access_iteratorINS0_11WorkStorageINS_6policy9workgroup32constant_stride_array_of_objectsEN8rajaperf23RAJAPoolAllocatorHolderINS_13basic_mempool7MemPoolINS_3hip15PinnedAllocatorEEEE9AllocatorIcEENS0_10DispatcherILN4camp9resources2v18PlatformE8ENS5_34indirect_virtual_function_dispatchENS4_3hip8hip_workILm1024ELb1EEEJEEEE19const_iterator_baseEEENS0_10WorkStructILm16ESQ_EElJEEEvT0_DpT3_,@function
_ZN4RAJA6detail28hip_unordered_y_block_globalILm1024ENS0_22random_access_iteratorINS0_11WorkStorageINS_6policy9workgroup32constant_stride_array_of_objectsEN8rajaperf23RAJAPoolAllocatorHolderINS_13basic_mempool7MemPoolINS_3hip15PinnedAllocatorEEEE9AllocatorIcEENS0_10DispatcherILN4camp9resources2v18PlatformE8ENS5_34indirect_virtual_function_dispatchENS4_3hip8hip_workILm1024ELb1EEEJEEEE19const_iterator_baseEEENS0_10WorkStructILm16ESQ_EElJEEEvT0_DpT3_: ; @_ZN4RAJA6detail28hip_unordered_y_block_globalILm1024ENS0_22random_access_iteratorINS0_11WorkStorageINS_6policy9workgroup32constant_stride_array_of_objectsEN8rajaperf23RAJAPoolAllocatorHolderINS_13basic_mempool7MemPoolINS_3hip15PinnedAllocatorEEEE9AllocatorIcEENS0_10DispatcherILN4camp9resources2v18PlatformE8ENS5_34indirect_virtual_function_dispatchENS4_3hip8hip_workILm1024ELb1EEEJEEEE19const_iterator_baseEEENS0_10WorkStructILm16ESQ_EElJEEEvT0_DpT3_
; %bb.0:
	s_mov_b64 s[36:37], s[6:7]
	s_mov_b64 s[38:39], s[4:5]
	s_load_dwordx4 s[4:7], s[8:9], 0x0
	s_add_u32 flat_scratch_lo, s12, s17
	s_addc_u32 flat_scratch_hi, s13, 0
	s_add_u32 s0, s0, s17
	s_mov_b64 s[34:35], s[10:11]
	s_waitcnt lgkmcnt(0)
	s_mul_i32 s7, s7, s15
	s_mul_hi_u32 s10, s6, s15
	s_addc_u32 s1, s1, 0
	s_add_i32 s10, s10, s7
	s_mul_i32 s6, s6, s15
	s_add_u32 s4, s4, s6
	s_addc_u32 s5, s5, s10
	s_load_dwordx2 s[52:53], s[4:5], 0x8
	s_add_u32 s64, s4, 16
	s_addc_u32 s65, s5, 0
	s_add_u32 s48, s8, 16
	v_lshlrev_b32_e32 v2, 20, v2
	s_waitcnt lgkmcnt(0)
	v_mov_b32_e32 v3, s52
	v_mov_b32_e32 v4, s53
	flat_load_dwordx2 v[3:4], v[3:4]
	v_lshlrev_b32_e32 v1, 10, v1
	s_mov_b32 s33, s16
	s_mov_b32 s50, s15
	;; [unrolled: 1-line block ×3, first 2 shown]
	s_addc_u32 s49, s9, 0
	v_or3_b32 v31, v0, v1, v2
	s_mov_b32 s32, 0
	s_mov_b64 s[4:5], exec
	s_waitcnt vmcnt(0) lgkmcnt(0)
	global_load_dwordx2 v[3:4], v[3:4], off
.LBB10_1:                               ; =>This Inner Loop Header: Depth=1
	s_waitcnt vmcnt(0)
	v_readfirstlane_b32 s16, v3
	v_readfirstlane_b32 s17, v4
	v_cmp_eq_u64_e32 vcc, s[16:17], v[3:4]
	s_and_saveexec_b64 s[54:55], vcc
	s_mov_b64 s[4:5], s[38:39]
	s_mov_b64 s[6:7], s[36:37]
	;; [unrolled: 1-line block ×4, first 2 shown]
	s_mov_b32 s12, s51
	s_mov_b32 s13, s50
	;; [unrolled: 1-line block ×3, first 2 shown]
	v_mov_b32_e32 v0, s52
	v_mov_b32_e32 v1, s53
	v_mov_b32_e32 v2, s64
	v_mov_b32_e32 v3, s65
	s_swappc_b64 s[30:31], s[16:17]
                                        ; implicit-def: $vgpr3_vgpr4
                                        ; implicit-def: $vgpr31
	s_xor_b64 exec, exec, s[54:55]
	s_cbranch_execnz .LBB10_1
; %bb.2:
	s_endpgm
	.section	.rodata,"a",@progbits
	.p2align	6, 0x0
	.amdhsa_kernel _ZN4RAJA6detail28hip_unordered_y_block_globalILm1024ENS0_22random_access_iteratorINS0_11WorkStorageINS_6policy9workgroup32constant_stride_array_of_objectsEN8rajaperf23RAJAPoolAllocatorHolderINS_13basic_mempool7MemPoolINS_3hip15PinnedAllocatorEEEE9AllocatorIcEENS0_10DispatcherILN4camp9resources2v18PlatformE8ENS5_34indirect_virtual_function_dispatchENS4_3hip8hip_workILm1024ELb1EEEJEEEE19const_iterator_baseEEENS0_10WorkStructILm16ESQ_EElJEEEvT0_DpT3_
		.amdhsa_group_segment_fixed_size 0
		.amdhsa_private_segment_fixed_size 0
		.amdhsa_kernarg_size 272
		.amdhsa_user_sgpr_count 14
		.amdhsa_user_sgpr_private_segment_buffer 1
		.amdhsa_user_sgpr_dispatch_ptr 1
		.amdhsa_user_sgpr_queue_ptr 1
		.amdhsa_user_sgpr_kernarg_segment_ptr 1
		.amdhsa_user_sgpr_dispatch_id 1
		.amdhsa_user_sgpr_flat_scratch_init 1
		.amdhsa_user_sgpr_private_segment_size 0
		.amdhsa_uses_dynamic_stack 1
		.amdhsa_system_sgpr_private_segment_wavefront_offset 1
		.amdhsa_system_sgpr_workgroup_id_x 1
		.amdhsa_system_sgpr_workgroup_id_y 1
		.amdhsa_system_sgpr_workgroup_id_z 1
		.amdhsa_system_sgpr_workgroup_info 0
		.amdhsa_system_vgpr_workitem_id 2
		.amdhsa_next_free_vgpr max(totalnumvgprs(_ZN4RAJA6detail28hip_unordered_y_block_globalILm1024ENS0_22random_access_iteratorINS0_11WorkStorageINS_6policy9workgroup32constant_stride_array_of_objectsEN8rajaperf23RAJAPoolAllocatorHolderINS_13basic_mempool7MemPoolINS_3hip15PinnedAllocatorEEEE9AllocatorIcEENS0_10DispatcherILN4camp9resources2v18PlatformE8ENS5_34indirect_virtual_function_dispatchENS4_3hip8hip_workILm1024ELb1EEEJEEEE19const_iterator_baseEEENS0_10WorkStructILm16ESQ_EElJEEEvT0_DpT3_.num_agpr, _ZN4RAJA6detail28hip_unordered_y_block_globalILm1024ENS0_22random_access_iteratorINS0_11WorkStorageINS_6policy9workgroup32constant_stride_array_of_objectsEN8rajaperf23RAJAPoolAllocatorHolderINS_13basic_mempool7MemPoolINS_3hip15PinnedAllocatorEEEE9AllocatorIcEENS0_10DispatcherILN4camp9resources2v18PlatformE8ENS5_34indirect_virtual_function_dispatchENS4_3hip8hip_workILm1024ELb1EEEJEEEE19const_iterator_baseEEENS0_10WorkStructILm16ESQ_EElJEEEvT0_DpT3_.num_vgpr), 1, 0)
		.amdhsa_next_free_sgpr max(_ZN4RAJA6detail28hip_unordered_y_block_globalILm1024ENS0_22random_access_iteratorINS0_11WorkStorageINS_6policy9workgroup32constant_stride_array_of_objectsEN8rajaperf23RAJAPoolAllocatorHolderINS_13basic_mempool7MemPoolINS_3hip15PinnedAllocatorEEEE9AllocatorIcEENS0_10DispatcherILN4camp9resources2v18PlatformE8ENS5_34indirect_virtual_function_dispatchENS4_3hip8hip_workILm1024ELb1EEEJEEEE19const_iterator_baseEEENS0_10WorkStructILm16ESQ_EElJEEEvT0_DpT3_.numbered_sgpr+6, 1, 0)-6
		.amdhsa_reserve_vcc 1
		.amdhsa_reserve_flat_scratch 1
		.amdhsa_float_round_mode_32 0
		.amdhsa_float_round_mode_16_64 0
		.amdhsa_float_denorm_mode_32 3
		.amdhsa_float_denorm_mode_16_64 3
		.amdhsa_dx10_clamp 1
		.amdhsa_ieee_mode 1
		.amdhsa_fp16_overflow 0
		.amdhsa_exception_fp_ieee_invalid_op 0
		.amdhsa_exception_fp_denorm_src 0
		.amdhsa_exception_fp_ieee_div_zero 0
		.amdhsa_exception_fp_ieee_overflow 0
		.amdhsa_exception_fp_ieee_underflow 0
		.amdhsa_exception_fp_ieee_inexact 0
		.amdhsa_exception_int_div_zero 0
	.end_amdhsa_kernel
	.section	.text._ZN4RAJA6detail28hip_unordered_y_block_globalILm1024ENS0_22random_access_iteratorINS0_11WorkStorageINS_6policy9workgroup32constant_stride_array_of_objectsEN8rajaperf23RAJAPoolAllocatorHolderINS_13basic_mempool7MemPoolINS_3hip15PinnedAllocatorEEEE9AllocatorIcEENS0_10DispatcherILN4camp9resources2v18PlatformE8ENS5_34indirect_virtual_function_dispatchENS4_3hip8hip_workILm1024ELb1EEEJEEEE19const_iterator_baseEEENS0_10WorkStructILm16ESQ_EElJEEEvT0_DpT3_,"axG",@progbits,_ZN4RAJA6detail28hip_unordered_y_block_globalILm1024ENS0_22random_access_iteratorINS0_11WorkStorageINS_6policy9workgroup32constant_stride_array_of_objectsEN8rajaperf23RAJAPoolAllocatorHolderINS_13basic_mempool7MemPoolINS_3hip15PinnedAllocatorEEEE9AllocatorIcEENS0_10DispatcherILN4camp9resources2v18PlatformE8ENS5_34indirect_virtual_function_dispatchENS4_3hip8hip_workILm1024ELb1EEEJEEEE19const_iterator_baseEEENS0_10WorkStructILm16ESQ_EElJEEEvT0_DpT3_,comdat
.Lfunc_end10:
	.size	_ZN4RAJA6detail28hip_unordered_y_block_globalILm1024ENS0_22random_access_iteratorINS0_11WorkStorageINS_6policy9workgroup32constant_stride_array_of_objectsEN8rajaperf23RAJAPoolAllocatorHolderINS_13basic_mempool7MemPoolINS_3hip15PinnedAllocatorEEEE9AllocatorIcEENS0_10DispatcherILN4camp9resources2v18PlatformE8ENS5_34indirect_virtual_function_dispatchENS4_3hip8hip_workILm1024ELb1EEEJEEEE19const_iterator_baseEEENS0_10WorkStructILm16ESQ_EElJEEEvT0_DpT3_, .Lfunc_end10-_ZN4RAJA6detail28hip_unordered_y_block_globalILm1024ENS0_22random_access_iteratorINS0_11WorkStorageINS_6policy9workgroup32constant_stride_array_of_objectsEN8rajaperf23RAJAPoolAllocatorHolderINS_13basic_mempool7MemPoolINS_3hip15PinnedAllocatorEEEE9AllocatorIcEENS0_10DispatcherILN4camp9resources2v18PlatformE8ENS5_34indirect_virtual_function_dispatchENS4_3hip8hip_workILm1024ELb1EEEJEEEE19const_iterator_baseEEENS0_10WorkStructILm16ESQ_EElJEEEvT0_DpT3_
                                        ; -- End function
	.set _ZN4RAJA6detail28hip_unordered_y_block_globalILm1024ENS0_22random_access_iteratorINS0_11WorkStorageINS_6policy9workgroup32constant_stride_array_of_objectsEN8rajaperf23RAJAPoolAllocatorHolderINS_13basic_mempool7MemPoolINS_3hip15PinnedAllocatorEEEE9AllocatorIcEENS0_10DispatcherILN4camp9resources2v18PlatformE8ENS5_34indirect_virtual_function_dispatchENS4_3hip8hip_workILm1024ELb1EEEJEEEE19const_iterator_baseEEENS0_10WorkStructILm16ESQ_EElJEEEvT0_DpT3_.num_vgpr, max(32, amdgpu.max_num_vgpr)
	.set _ZN4RAJA6detail28hip_unordered_y_block_globalILm1024ENS0_22random_access_iteratorINS0_11WorkStorageINS_6policy9workgroup32constant_stride_array_of_objectsEN8rajaperf23RAJAPoolAllocatorHolderINS_13basic_mempool7MemPoolINS_3hip15PinnedAllocatorEEEE9AllocatorIcEENS0_10DispatcherILN4camp9resources2v18PlatformE8ENS5_34indirect_virtual_function_dispatchENS4_3hip8hip_workILm1024ELb1EEEJEEEE19const_iterator_baseEEENS0_10WorkStructILm16ESQ_EElJEEEvT0_DpT3_.num_agpr, max(0, amdgpu.max_num_agpr)
	.set _ZN4RAJA6detail28hip_unordered_y_block_globalILm1024ENS0_22random_access_iteratorINS0_11WorkStorageINS_6policy9workgroup32constant_stride_array_of_objectsEN8rajaperf23RAJAPoolAllocatorHolderINS_13basic_mempool7MemPoolINS_3hip15PinnedAllocatorEEEE9AllocatorIcEENS0_10DispatcherILN4camp9resources2v18PlatformE8ENS5_34indirect_virtual_function_dispatchENS4_3hip8hip_workILm1024ELb1EEEJEEEE19const_iterator_baseEEENS0_10WorkStructILm16ESQ_EElJEEEvT0_DpT3_.numbered_sgpr, max(66, amdgpu.max_num_sgpr)
	.set _ZN4RAJA6detail28hip_unordered_y_block_globalILm1024ENS0_22random_access_iteratorINS0_11WorkStorageINS_6policy9workgroup32constant_stride_array_of_objectsEN8rajaperf23RAJAPoolAllocatorHolderINS_13basic_mempool7MemPoolINS_3hip15PinnedAllocatorEEEE9AllocatorIcEENS0_10DispatcherILN4camp9resources2v18PlatformE8ENS5_34indirect_virtual_function_dispatchENS4_3hip8hip_workILm1024ELb1EEEJEEEE19const_iterator_baseEEENS0_10WorkStructILm16ESQ_EElJEEEvT0_DpT3_.num_named_barrier, max(0, amdgpu.max_num_named_barrier)
	.set _ZN4RAJA6detail28hip_unordered_y_block_globalILm1024ENS0_22random_access_iteratorINS0_11WorkStorageINS_6policy9workgroup32constant_stride_array_of_objectsEN8rajaperf23RAJAPoolAllocatorHolderINS_13basic_mempool7MemPoolINS_3hip15PinnedAllocatorEEEE9AllocatorIcEENS0_10DispatcherILN4camp9resources2v18PlatformE8ENS5_34indirect_virtual_function_dispatchENS4_3hip8hip_workILm1024ELb1EEEJEEEE19const_iterator_baseEEENS0_10WorkStructILm16ESQ_EElJEEEvT0_DpT3_.private_seg_size, 0
	.set _ZN4RAJA6detail28hip_unordered_y_block_globalILm1024ENS0_22random_access_iteratorINS0_11WorkStorageINS_6policy9workgroup32constant_stride_array_of_objectsEN8rajaperf23RAJAPoolAllocatorHolderINS_13basic_mempool7MemPoolINS_3hip15PinnedAllocatorEEEE9AllocatorIcEENS0_10DispatcherILN4camp9resources2v18PlatformE8ENS5_34indirect_virtual_function_dispatchENS4_3hip8hip_workILm1024ELb1EEEJEEEE19const_iterator_baseEEENS0_10WorkStructILm16ESQ_EElJEEEvT0_DpT3_.uses_vcc, 1
	.set _ZN4RAJA6detail28hip_unordered_y_block_globalILm1024ENS0_22random_access_iteratorINS0_11WorkStorageINS_6policy9workgroup32constant_stride_array_of_objectsEN8rajaperf23RAJAPoolAllocatorHolderINS_13basic_mempool7MemPoolINS_3hip15PinnedAllocatorEEEE9AllocatorIcEENS0_10DispatcherILN4camp9resources2v18PlatformE8ENS5_34indirect_virtual_function_dispatchENS4_3hip8hip_workILm1024ELb1EEEJEEEE19const_iterator_baseEEENS0_10WorkStructILm16ESQ_EElJEEEvT0_DpT3_.uses_flat_scratch, 1
	.set _ZN4RAJA6detail28hip_unordered_y_block_globalILm1024ENS0_22random_access_iteratorINS0_11WorkStorageINS_6policy9workgroup32constant_stride_array_of_objectsEN8rajaperf23RAJAPoolAllocatorHolderINS_13basic_mempool7MemPoolINS_3hip15PinnedAllocatorEEEE9AllocatorIcEENS0_10DispatcherILN4camp9resources2v18PlatformE8ENS5_34indirect_virtual_function_dispatchENS4_3hip8hip_workILm1024ELb1EEEJEEEE19const_iterator_baseEEENS0_10WorkStructILm16ESQ_EElJEEEvT0_DpT3_.has_dyn_sized_stack, 1
	.set _ZN4RAJA6detail28hip_unordered_y_block_globalILm1024ENS0_22random_access_iteratorINS0_11WorkStorageINS_6policy9workgroup32constant_stride_array_of_objectsEN8rajaperf23RAJAPoolAllocatorHolderINS_13basic_mempool7MemPoolINS_3hip15PinnedAllocatorEEEE9AllocatorIcEENS0_10DispatcherILN4camp9resources2v18PlatformE8ENS5_34indirect_virtual_function_dispatchENS4_3hip8hip_workILm1024ELb1EEEJEEEE19const_iterator_baseEEENS0_10WorkStructILm16ESQ_EElJEEEvT0_DpT3_.has_recursion, 1
	.set _ZN4RAJA6detail28hip_unordered_y_block_globalILm1024ENS0_22random_access_iteratorINS0_11WorkStorageINS_6policy9workgroup32constant_stride_array_of_objectsEN8rajaperf23RAJAPoolAllocatorHolderINS_13basic_mempool7MemPoolINS_3hip15PinnedAllocatorEEEE9AllocatorIcEENS0_10DispatcherILN4camp9resources2v18PlatformE8ENS5_34indirect_virtual_function_dispatchENS4_3hip8hip_workILm1024ELb1EEEJEEEE19const_iterator_baseEEENS0_10WorkStructILm16ESQ_EElJEEEvT0_DpT3_.has_indirect_call, 1
	.section	.AMDGPU.csdata,"",@progbits
; Kernel info:
; codeLenInByte = 236
; TotalNumSgprs: _ZN4RAJA6detail28hip_unordered_y_block_globalILm1024ENS0_22random_access_iteratorINS0_11WorkStorageINS_6policy9workgroup32constant_stride_array_of_objectsEN8rajaperf23RAJAPoolAllocatorHolderINS_13basic_mempool7MemPoolINS_3hip15PinnedAllocatorEEEE9AllocatorIcEENS0_10DispatcherILN4camp9resources2v18PlatformE8ENS5_34indirect_virtual_function_dispatchENS4_3hip8hip_workILm1024ELb1EEEJEEEE19const_iterator_baseEEENS0_10WorkStructILm16ESQ_EElJEEEvT0_DpT3_.numbered_sgpr+6
; NumVgprs: _ZN4RAJA6detail28hip_unordered_y_block_globalILm1024ENS0_22random_access_iteratorINS0_11WorkStorageINS_6policy9workgroup32constant_stride_array_of_objectsEN8rajaperf23RAJAPoolAllocatorHolderINS_13basic_mempool7MemPoolINS_3hip15PinnedAllocatorEEEE9AllocatorIcEENS0_10DispatcherILN4camp9resources2v18PlatformE8ENS5_34indirect_virtual_function_dispatchENS4_3hip8hip_workILm1024ELb1EEEJEEEE19const_iterator_baseEEENS0_10WorkStructILm16ESQ_EElJEEEvT0_DpT3_.num_vgpr
; ScratchSize: 0
; MemoryBound: 0
; FloatMode: 240
; IeeeMode: 1
; LDSByteSize: 0 bytes/workgroup (compile time only)
; SGPRBlocks: (alignto(max(max(_ZN4RAJA6detail28hip_unordered_y_block_globalILm1024ENS0_22random_access_iteratorINS0_11WorkStorageINS_6policy9workgroup32constant_stride_array_of_objectsEN8rajaperf23RAJAPoolAllocatorHolderINS_13basic_mempool7MemPoolINS_3hip15PinnedAllocatorEEEE9AllocatorIcEENS0_10DispatcherILN4camp9resources2v18PlatformE8ENS5_34indirect_virtual_function_dispatchENS4_3hip8hip_workILm1024ELb1EEEJEEEE19const_iterator_baseEEENS0_10WorkStructILm16ESQ_EElJEEEvT0_DpT3_.numbered_sgpr+extrasgprs(_ZN4RAJA6detail28hip_unordered_y_block_globalILm1024ENS0_22random_access_iteratorINS0_11WorkStorageINS_6policy9workgroup32constant_stride_array_of_objectsEN8rajaperf23RAJAPoolAllocatorHolderINS_13basic_mempool7MemPoolINS_3hip15PinnedAllocatorEEEE9AllocatorIcEENS0_10DispatcherILN4camp9resources2v18PlatformE8ENS5_34indirect_virtual_function_dispatchENS4_3hip8hip_workILm1024ELb1EEEJEEEE19const_iterator_baseEEENS0_10WorkStructILm16ESQ_EElJEEEvT0_DpT3_.uses_vcc, _ZN4RAJA6detail28hip_unordered_y_block_globalILm1024ENS0_22random_access_iteratorINS0_11WorkStorageINS_6policy9workgroup32constant_stride_array_of_objectsEN8rajaperf23RAJAPoolAllocatorHolderINS_13basic_mempool7MemPoolINS_3hip15PinnedAllocatorEEEE9AllocatorIcEENS0_10DispatcherILN4camp9resources2v18PlatformE8ENS5_34indirect_virtual_function_dispatchENS4_3hip8hip_workILm1024ELb1EEEJEEEE19const_iterator_baseEEENS0_10WorkStructILm16ESQ_EElJEEEvT0_DpT3_.uses_flat_scratch, 1), 1, 0), 1), 8)/8)-1
; VGPRBlocks: (alignto(max(max(totalnumvgprs(_ZN4RAJA6detail28hip_unordered_y_block_globalILm1024ENS0_22random_access_iteratorINS0_11WorkStorageINS_6policy9workgroup32constant_stride_array_of_objectsEN8rajaperf23RAJAPoolAllocatorHolderINS_13basic_mempool7MemPoolINS_3hip15PinnedAllocatorEEEE9AllocatorIcEENS0_10DispatcherILN4camp9resources2v18PlatformE8ENS5_34indirect_virtual_function_dispatchENS4_3hip8hip_workILm1024ELb1EEEJEEEE19const_iterator_baseEEENS0_10WorkStructILm16ESQ_EElJEEEvT0_DpT3_.num_agpr, _ZN4RAJA6detail28hip_unordered_y_block_globalILm1024ENS0_22random_access_iteratorINS0_11WorkStorageINS_6policy9workgroup32constant_stride_array_of_objectsEN8rajaperf23RAJAPoolAllocatorHolderINS_13basic_mempool7MemPoolINS_3hip15PinnedAllocatorEEEE9AllocatorIcEENS0_10DispatcherILN4camp9resources2v18PlatformE8ENS5_34indirect_virtual_function_dispatchENS4_3hip8hip_workILm1024ELb1EEEJEEEE19const_iterator_baseEEENS0_10WorkStructILm16ESQ_EElJEEEvT0_DpT3_.num_vgpr), 1, 0), 1), 4)/4)-1
; NumSGPRsForWavesPerEU: max(_ZN4RAJA6detail28hip_unordered_y_block_globalILm1024ENS0_22random_access_iteratorINS0_11WorkStorageINS_6policy9workgroup32constant_stride_array_of_objectsEN8rajaperf23RAJAPoolAllocatorHolderINS_13basic_mempool7MemPoolINS_3hip15PinnedAllocatorEEEE9AllocatorIcEENS0_10DispatcherILN4camp9resources2v18PlatformE8ENS5_34indirect_virtual_function_dispatchENS4_3hip8hip_workILm1024ELb1EEEJEEEE19const_iterator_baseEEENS0_10WorkStructILm16ESQ_EElJEEEvT0_DpT3_.numbered_sgpr+6, 1, 0)
; NumVGPRsForWavesPerEU: max(totalnumvgprs(_ZN4RAJA6detail28hip_unordered_y_block_globalILm1024ENS0_22random_access_iteratorINS0_11WorkStorageINS_6policy9workgroup32constant_stride_array_of_objectsEN8rajaperf23RAJAPoolAllocatorHolderINS_13basic_mempool7MemPoolINS_3hip15PinnedAllocatorEEEE9AllocatorIcEENS0_10DispatcherILN4camp9resources2v18PlatformE8ENS5_34indirect_virtual_function_dispatchENS4_3hip8hip_workILm1024ELb1EEEJEEEE19const_iterator_baseEEENS0_10WorkStructILm16ESQ_EElJEEEvT0_DpT3_.num_agpr, _ZN4RAJA6detail28hip_unordered_y_block_globalILm1024ENS0_22random_access_iteratorINS0_11WorkStorageINS_6policy9workgroup32constant_stride_array_of_objectsEN8rajaperf23RAJAPoolAllocatorHolderINS_13basic_mempool7MemPoolINS_3hip15PinnedAllocatorEEEE9AllocatorIcEENS0_10DispatcherILN4camp9resources2v18PlatformE8ENS5_34indirect_virtual_function_dispatchENS4_3hip8hip_workILm1024ELb1EEEJEEEE19const_iterator_baseEEENS0_10WorkStructILm16ESQ_EElJEEEvT0_DpT3_.num_vgpr), 1, 0)
; Occupancy: occupancy(10, 4, 256, 8, 10, max(_ZN4RAJA6detail28hip_unordered_y_block_globalILm1024ENS0_22random_access_iteratorINS0_11WorkStorageINS_6policy9workgroup32constant_stride_array_of_objectsEN8rajaperf23RAJAPoolAllocatorHolderINS_13basic_mempool7MemPoolINS_3hip15PinnedAllocatorEEEE9AllocatorIcEENS0_10DispatcherILN4camp9resources2v18PlatformE8ENS5_34indirect_virtual_function_dispatchENS4_3hip8hip_workILm1024ELb1EEEJEEEE19const_iterator_baseEEENS0_10WorkStructILm16ESQ_EElJEEEvT0_DpT3_.numbered_sgpr+extrasgprs(_ZN4RAJA6detail28hip_unordered_y_block_globalILm1024ENS0_22random_access_iteratorINS0_11WorkStorageINS_6policy9workgroup32constant_stride_array_of_objectsEN8rajaperf23RAJAPoolAllocatorHolderINS_13basic_mempool7MemPoolINS_3hip15PinnedAllocatorEEEE9AllocatorIcEENS0_10DispatcherILN4camp9resources2v18PlatformE8ENS5_34indirect_virtual_function_dispatchENS4_3hip8hip_workILm1024ELb1EEEJEEEE19const_iterator_baseEEENS0_10WorkStructILm16ESQ_EElJEEEvT0_DpT3_.uses_vcc, _ZN4RAJA6detail28hip_unordered_y_block_globalILm1024ENS0_22random_access_iteratorINS0_11WorkStorageINS_6policy9workgroup32constant_stride_array_of_objectsEN8rajaperf23RAJAPoolAllocatorHolderINS_13basic_mempool7MemPoolINS_3hip15PinnedAllocatorEEEE9AllocatorIcEENS0_10DispatcherILN4camp9resources2v18PlatformE8ENS5_34indirect_virtual_function_dispatchENS4_3hip8hip_workILm1024ELb1EEEJEEEE19const_iterator_baseEEENS0_10WorkStructILm16ESQ_EElJEEEvT0_DpT3_.uses_flat_scratch, 1), 1, 0), max(totalnumvgprs(_ZN4RAJA6detail28hip_unordered_y_block_globalILm1024ENS0_22random_access_iteratorINS0_11WorkStorageINS_6policy9workgroup32constant_stride_array_of_objectsEN8rajaperf23RAJAPoolAllocatorHolderINS_13basic_mempool7MemPoolINS_3hip15PinnedAllocatorEEEE9AllocatorIcEENS0_10DispatcherILN4camp9resources2v18PlatformE8ENS5_34indirect_virtual_function_dispatchENS4_3hip8hip_workILm1024ELb1EEEJEEEE19const_iterator_baseEEENS0_10WorkStructILm16ESQ_EElJEEEvT0_DpT3_.num_agpr, _ZN4RAJA6detail28hip_unordered_y_block_globalILm1024ENS0_22random_access_iteratorINS0_11WorkStorageINS_6policy9workgroup32constant_stride_array_of_objectsEN8rajaperf23RAJAPoolAllocatorHolderINS_13basic_mempool7MemPoolINS_3hip15PinnedAllocatorEEEE9AllocatorIcEENS0_10DispatcherILN4camp9resources2v18PlatformE8ENS5_34indirect_virtual_function_dispatchENS4_3hip8hip_workILm1024ELb1EEEJEEEE19const_iterator_baseEEENS0_10WorkStructILm16ESQ_EElJEEEvT0_DpT3_.num_vgpr), 1, 0))
; WaveLimiterHint : 0
; COMPUTE_PGM_RSRC2:SCRATCH_EN: 1
; COMPUTE_PGM_RSRC2:USER_SGPR: 14
; COMPUTE_PGM_RSRC2:TRAP_HANDLER: 0
; COMPUTE_PGM_RSRC2:TGID_X_EN: 1
; COMPUTE_PGM_RSRC2:TGID_Y_EN: 1
; COMPUTE_PGM_RSRC2:TGID_Z_EN: 1
; COMPUTE_PGM_RSRC2:TIDIG_COMP_CNT: 2
	.section	.text._ZN4RAJA6detail3hip16get_value_globalINS0_10DispatcherILN4camp9resources2v18PlatformE8ENS_6policy9workgroup34indirect_virtual_function_dispatchENS8_3hip8hip_workILm1024ELb1EEEJEE21DeviceImplTypeFactoryINS0_29HoldHipDeviceXThreadblockLoopINS_17TypedRangeSegmentIllEEN8rajaperf4comm9HALO_base8UnPackerElJEEEEEEEvPNT_10value_typeESP_,"axG",@progbits,_ZN4RAJA6detail3hip16get_value_globalINS0_10DispatcherILN4camp9resources2v18PlatformE8ENS_6policy9workgroup34indirect_virtual_function_dispatchENS8_3hip8hip_workILm1024ELb1EEEJEE21DeviceImplTypeFactoryINS0_29HoldHipDeviceXThreadblockLoopINS_17TypedRangeSegmentIllEEN8rajaperf4comm9HALO_base8UnPackerElJEEEEEEEvPNT_10value_typeESP_,comdat
	.protected	_ZN4RAJA6detail3hip16get_value_globalINS0_10DispatcherILN4camp9resources2v18PlatformE8ENS_6policy9workgroup34indirect_virtual_function_dispatchENS8_3hip8hip_workILm1024ELb1EEEJEE21DeviceImplTypeFactoryINS0_29HoldHipDeviceXThreadblockLoopINS_17TypedRangeSegmentIllEEN8rajaperf4comm9HALO_base8UnPackerElJEEEEEEEvPNT_10value_typeESP_ ; -- Begin function _ZN4RAJA6detail3hip16get_value_globalINS0_10DispatcherILN4camp9resources2v18PlatformE8ENS_6policy9workgroup34indirect_virtual_function_dispatchENS8_3hip8hip_workILm1024ELb1EEEJEE21DeviceImplTypeFactoryINS0_29HoldHipDeviceXThreadblockLoopINS_17TypedRangeSegmentIllEEN8rajaperf4comm9HALO_base8UnPackerElJEEEEEEEvPNT_10value_typeESP_
	.globl	_ZN4RAJA6detail3hip16get_value_globalINS0_10DispatcherILN4camp9resources2v18PlatformE8ENS_6policy9workgroup34indirect_virtual_function_dispatchENS8_3hip8hip_workILm1024ELb1EEEJEE21DeviceImplTypeFactoryINS0_29HoldHipDeviceXThreadblockLoopINS_17TypedRangeSegmentIllEEN8rajaperf4comm9HALO_base8UnPackerElJEEEEEEEvPNT_10value_typeESP_
	.p2align	8
	.type	_ZN4RAJA6detail3hip16get_value_globalINS0_10DispatcherILN4camp9resources2v18PlatformE8ENS_6policy9workgroup34indirect_virtual_function_dispatchENS8_3hip8hip_workILm1024ELb1EEEJEE21DeviceImplTypeFactoryINS0_29HoldHipDeviceXThreadblockLoopINS_17TypedRangeSegmentIllEEN8rajaperf4comm9HALO_base8UnPackerElJEEEEEEEvPNT_10value_typeESP_,@function
_ZN4RAJA6detail3hip16get_value_globalINS0_10DispatcherILN4camp9resources2v18PlatformE8ENS_6policy9workgroup34indirect_virtual_function_dispatchENS8_3hip8hip_workILm1024ELb1EEEJEE21DeviceImplTypeFactoryINS0_29HoldHipDeviceXThreadblockLoopINS_17TypedRangeSegmentIllEEN8rajaperf4comm9HALO_base8UnPackerElJEEEEEEEvPNT_10value_typeESP_: ; @_ZN4RAJA6detail3hip16get_value_globalINS0_10DispatcherILN4camp9resources2v18PlatformE8ENS_6policy9workgroup34indirect_virtual_function_dispatchENS8_3hip8hip_workILm1024ELb1EEEJEE21DeviceImplTypeFactoryINS0_29HoldHipDeviceXThreadblockLoopINS_17TypedRangeSegmentIllEEN8rajaperf4comm9HALO_base8UnPackerElJEEEEEEEvPNT_10value_typeESP_
; %bb.0:
	s_load_dwordx2 s[0:1], s[4:5], 0x0
	s_getpc_b64 s[2:3]
	s_add_u32 s2, s2, _ZZN4RAJA6detail10DispatcherILN4camp9resources2v18PlatformE8ENS_6policy9workgroup34indirect_virtual_function_dispatchENS6_3hip8hip_workILm1024ELb1EEEJEE21DeviceImplTypeFactoryINS0_29HoldHipDeviceXThreadblockLoopINS_17TypedRangeSegmentIllEEN8rajaperf4comm9HALO_base8UnPackerElJEEEEclEvE13s_device_impl@rel32@lo+4
	s_addc_u32 s3, s3, _ZZN4RAJA6detail10DispatcherILN4camp9resources2v18PlatformE8ENS_6policy9workgroup34indirect_virtual_function_dispatchENS6_3hip8hip_workILm1024ELb1EEEJEE21DeviceImplTypeFactoryINS0_29HoldHipDeviceXThreadblockLoopINS_17TypedRangeSegmentIllEEN8rajaperf4comm9HALO_base8UnPackerElJEEEEclEvE13s_device_impl@rel32@hi+12
	v_mov_b32_e32 v0, s2
	v_mov_b32_e32 v2, 0
	;; [unrolled: 1-line block ×3, first 2 shown]
	s_waitcnt lgkmcnt(0)
	global_store_dwordx2 v2, v[0:1], s[0:1]
	s_endpgm
	.section	.rodata,"a",@progbits
	.p2align	6, 0x0
	.amdhsa_kernel _ZN4RAJA6detail3hip16get_value_globalINS0_10DispatcherILN4camp9resources2v18PlatformE8ENS_6policy9workgroup34indirect_virtual_function_dispatchENS8_3hip8hip_workILm1024ELb1EEEJEE21DeviceImplTypeFactoryINS0_29HoldHipDeviceXThreadblockLoopINS_17TypedRangeSegmentIllEEN8rajaperf4comm9HALO_base8UnPackerElJEEEEEEEvPNT_10value_typeESP_
		.amdhsa_group_segment_fixed_size 0
		.amdhsa_private_segment_fixed_size 0
		.amdhsa_kernarg_size 12
		.amdhsa_user_sgpr_count 6
		.amdhsa_user_sgpr_private_segment_buffer 1
		.amdhsa_user_sgpr_dispatch_ptr 0
		.amdhsa_user_sgpr_queue_ptr 0
		.amdhsa_user_sgpr_kernarg_segment_ptr 1
		.amdhsa_user_sgpr_dispatch_id 0
		.amdhsa_user_sgpr_flat_scratch_init 0
		.amdhsa_user_sgpr_private_segment_size 0
		.amdhsa_uses_dynamic_stack 0
		.amdhsa_system_sgpr_private_segment_wavefront_offset 0
		.amdhsa_system_sgpr_workgroup_id_x 1
		.amdhsa_system_sgpr_workgroup_id_y 0
		.amdhsa_system_sgpr_workgroup_id_z 0
		.amdhsa_system_sgpr_workgroup_info 0
		.amdhsa_system_vgpr_workitem_id 0
		.amdhsa_next_free_vgpr 3
		.amdhsa_next_free_sgpr 6
		.amdhsa_reserve_vcc 0
		.amdhsa_reserve_flat_scratch 0
		.amdhsa_float_round_mode_32 0
		.amdhsa_float_round_mode_16_64 0
		.amdhsa_float_denorm_mode_32 3
		.amdhsa_float_denorm_mode_16_64 3
		.amdhsa_dx10_clamp 1
		.amdhsa_ieee_mode 1
		.amdhsa_fp16_overflow 0
		.amdhsa_exception_fp_ieee_invalid_op 0
		.amdhsa_exception_fp_denorm_src 0
		.amdhsa_exception_fp_ieee_div_zero 0
		.amdhsa_exception_fp_ieee_overflow 0
		.amdhsa_exception_fp_ieee_underflow 0
		.amdhsa_exception_fp_ieee_inexact 0
		.amdhsa_exception_int_div_zero 0
	.end_amdhsa_kernel
	.section	.text._ZN4RAJA6detail3hip16get_value_globalINS0_10DispatcherILN4camp9resources2v18PlatformE8ENS_6policy9workgroup34indirect_virtual_function_dispatchENS8_3hip8hip_workILm1024ELb1EEEJEE21DeviceImplTypeFactoryINS0_29HoldHipDeviceXThreadblockLoopINS_17TypedRangeSegmentIllEEN8rajaperf4comm9HALO_base8UnPackerElJEEEEEEEvPNT_10value_typeESP_,"axG",@progbits,_ZN4RAJA6detail3hip16get_value_globalINS0_10DispatcherILN4camp9resources2v18PlatformE8ENS_6policy9workgroup34indirect_virtual_function_dispatchENS8_3hip8hip_workILm1024ELb1EEEJEE21DeviceImplTypeFactoryINS0_29HoldHipDeviceXThreadblockLoopINS_17TypedRangeSegmentIllEEN8rajaperf4comm9HALO_base8UnPackerElJEEEEEEEvPNT_10value_typeESP_,comdat
.Lfunc_end11:
	.size	_ZN4RAJA6detail3hip16get_value_globalINS0_10DispatcherILN4camp9resources2v18PlatformE8ENS_6policy9workgroup34indirect_virtual_function_dispatchENS8_3hip8hip_workILm1024ELb1EEEJEE21DeviceImplTypeFactoryINS0_29HoldHipDeviceXThreadblockLoopINS_17TypedRangeSegmentIllEEN8rajaperf4comm9HALO_base8UnPackerElJEEEEEEEvPNT_10value_typeESP_, .Lfunc_end11-_ZN4RAJA6detail3hip16get_value_globalINS0_10DispatcherILN4camp9resources2v18PlatformE8ENS_6policy9workgroup34indirect_virtual_function_dispatchENS8_3hip8hip_workILm1024ELb1EEEJEE21DeviceImplTypeFactoryINS0_29HoldHipDeviceXThreadblockLoopINS_17TypedRangeSegmentIllEEN8rajaperf4comm9HALO_base8UnPackerElJEEEEEEEvPNT_10value_typeESP_
                                        ; -- End function
	.set _ZN4RAJA6detail3hip16get_value_globalINS0_10DispatcherILN4camp9resources2v18PlatformE8ENS_6policy9workgroup34indirect_virtual_function_dispatchENS8_3hip8hip_workILm1024ELb1EEEJEE21DeviceImplTypeFactoryINS0_29HoldHipDeviceXThreadblockLoopINS_17TypedRangeSegmentIllEEN8rajaperf4comm9HALO_base8UnPackerElJEEEEEEEvPNT_10value_typeESP_.num_vgpr, 3
	.set _ZN4RAJA6detail3hip16get_value_globalINS0_10DispatcherILN4camp9resources2v18PlatformE8ENS_6policy9workgroup34indirect_virtual_function_dispatchENS8_3hip8hip_workILm1024ELb1EEEJEE21DeviceImplTypeFactoryINS0_29HoldHipDeviceXThreadblockLoopINS_17TypedRangeSegmentIllEEN8rajaperf4comm9HALO_base8UnPackerElJEEEEEEEvPNT_10value_typeESP_.num_agpr, 0
	.set _ZN4RAJA6detail3hip16get_value_globalINS0_10DispatcherILN4camp9resources2v18PlatformE8ENS_6policy9workgroup34indirect_virtual_function_dispatchENS8_3hip8hip_workILm1024ELb1EEEJEE21DeviceImplTypeFactoryINS0_29HoldHipDeviceXThreadblockLoopINS_17TypedRangeSegmentIllEEN8rajaperf4comm9HALO_base8UnPackerElJEEEEEEEvPNT_10value_typeESP_.numbered_sgpr, 6
	.set _ZN4RAJA6detail3hip16get_value_globalINS0_10DispatcherILN4camp9resources2v18PlatformE8ENS_6policy9workgroup34indirect_virtual_function_dispatchENS8_3hip8hip_workILm1024ELb1EEEJEE21DeviceImplTypeFactoryINS0_29HoldHipDeviceXThreadblockLoopINS_17TypedRangeSegmentIllEEN8rajaperf4comm9HALO_base8UnPackerElJEEEEEEEvPNT_10value_typeESP_.num_named_barrier, 0
	.set _ZN4RAJA6detail3hip16get_value_globalINS0_10DispatcherILN4camp9resources2v18PlatformE8ENS_6policy9workgroup34indirect_virtual_function_dispatchENS8_3hip8hip_workILm1024ELb1EEEJEE21DeviceImplTypeFactoryINS0_29HoldHipDeviceXThreadblockLoopINS_17TypedRangeSegmentIllEEN8rajaperf4comm9HALO_base8UnPackerElJEEEEEEEvPNT_10value_typeESP_.private_seg_size, 0
	.set _ZN4RAJA6detail3hip16get_value_globalINS0_10DispatcherILN4camp9resources2v18PlatformE8ENS_6policy9workgroup34indirect_virtual_function_dispatchENS8_3hip8hip_workILm1024ELb1EEEJEE21DeviceImplTypeFactoryINS0_29HoldHipDeviceXThreadblockLoopINS_17TypedRangeSegmentIllEEN8rajaperf4comm9HALO_base8UnPackerElJEEEEEEEvPNT_10value_typeESP_.uses_vcc, 0
	.set _ZN4RAJA6detail3hip16get_value_globalINS0_10DispatcherILN4camp9resources2v18PlatformE8ENS_6policy9workgroup34indirect_virtual_function_dispatchENS8_3hip8hip_workILm1024ELb1EEEJEE21DeviceImplTypeFactoryINS0_29HoldHipDeviceXThreadblockLoopINS_17TypedRangeSegmentIllEEN8rajaperf4comm9HALO_base8UnPackerElJEEEEEEEvPNT_10value_typeESP_.uses_flat_scratch, 0
	.set _ZN4RAJA6detail3hip16get_value_globalINS0_10DispatcherILN4camp9resources2v18PlatformE8ENS_6policy9workgroup34indirect_virtual_function_dispatchENS8_3hip8hip_workILm1024ELb1EEEJEE21DeviceImplTypeFactoryINS0_29HoldHipDeviceXThreadblockLoopINS_17TypedRangeSegmentIllEEN8rajaperf4comm9HALO_base8UnPackerElJEEEEEEEvPNT_10value_typeESP_.has_dyn_sized_stack, 0
	.set _ZN4RAJA6detail3hip16get_value_globalINS0_10DispatcherILN4camp9resources2v18PlatformE8ENS_6policy9workgroup34indirect_virtual_function_dispatchENS8_3hip8hip_workILm1024ELb1EEEJEE21DeviceImplTypeFactoryINS0_29HoldHipDeviceXThreadblockLoopINS_17TypedRangeSegmentIllEEN8rajaperf4comm9HALO_base8UnPackerElJEEEEEEEvPNT_10value_typeESP_.has_recursion, 0
	.set _ZN4RAJA6detail3hip16get_value_globalINS0_10DispatcherILN4camp9resources2v18PlatformE8ENS_6policy9workgroup34indirect_virtual_function_dispatchENS8_3hip8hip_workILm1024ELb1EEEJEE21DeviceImplTypeFactoryINS0_29HoldHipDeviceXThreadblockLoopINS_17TypedRangeSegmentIllEEN8rajaperf4comm9HALO_base8UnPackerElJEEEEEEEvPNT_10value_typeESP_.has_indirect_call, 0
	.section	.AMDGPU.csdata,"",@progbits
; Kernel info:
; codeLenInByte = 56
; TotalNumSgprs: 10
; NumVgprs: 3
; ScratchSize: 0
; MemoryBound: 0
; FloatMode: 240
; IeeeMode: 1
; LDSByteSize: 0 bytes/workgroup (compile time only)
; SGPRBlocks: 1
; VGPRBlocks: 0
; NumSGPRsForWavesPerEU: 10
; NumVGPRsForWavesPerEU: 3
; Occupancy: 10
; WaveLimiterHint : 0
; COMPUTE_PGM_RSRC2:SCRATCH_EN: 0
; COMPUTE_PGM_RSRC2:USER_SGPR: 6
; COMPUTE_PGM_RSRC2:TRAP_HANDLER: 0
; COMPUTE_PGM_RSRC2:TGID_X_EN: 1
; COMPUTE_PGM_RSRC2:TGID_Y_EN: 0
; COMPUTE_PGM_RSRC2:TGID_Z_EN: 0
; COMPUTE_PGM_RSRC2:TIDIG_COMP_CNT: 0
	.text
	.p2align	2                               ; -- Begin function _ZNK4RAJA6detail10DispatcherILN4camp9resources2v18PlatformE8ENS_6policy9workgroup34indirect_virtual_function_dispatchENS6_3hip8hip_workILm1024ELb1EEEJEE16device_impl_typeINS0_29HoldHipDeviceXThreadblockLoopINS_17TypedRangeSegmentIllEEN8rajaperf4comm9HALO_base8UnPackerElJEEEE6invokeENS0_29DispatcherVoidConstPtrWrapperISB_EE
	.type	_ZNK4RAJA6detail10DispatcherILN4camp9resources2v18PlatformE8ENS_6policy9workgroup34indirect_virtual_function_dispatchENS6_3hip8hip_workILm1024ELb1EEEJEE16device_impl_typeINS0_29HoldHipDeviceXThreadblockLoopINS_17TypedRangeSegmentIllEEN8rajaperf4comm9HALO_base8UnPackerElJEEEE6invokeENS0_29DispatcherVoidConstPtrWrapperISB_EE,@function
_ZNK4RAJA6detail10DispatcherILN4camp9resources2v18PlatformE8ENS_6policy9workgroup34indirect_virtual_function_dispatchENS6_3hip8hip_workILm1024ELb1EEEJEE16device_impl_typeINS0_29HoldHipDeviceXThreadblockLoopINS_17TypedRangeSegmentIllEEN8rajaperf4comm9HALO_base8UnPackerElJEEEE6invokeENS0_29DispatcherVoidConstPtrWrapperISB_EE: ; @_ZNK4RAJA6detail10DispatcherILN4camp9resources2v18PlatformE8ENS_6policy9workgroup34indirect_virtual_function_dispatchENS6_3hip8hip_workILm1024ELb1EEEJEE16device_impl_typeINS0_29HoldHipDeviceXThreadblockLoopINS_17TypedRangeSegmentIllEEN8rajaperf4comm9HALO_base8UnPackerElJEEEE6invokeENS0_29DispatcherVoidConstPtrWrapperISB_EE
; %bb.0:
	s_waitcnt vmcnt(0) expcnt(0) lgkmcnt(0)
	s_load_dword s4, s[8:9], 0x0
	v_mov_b32_e32 v1, 0
	v_and_b32_e32 v4, 0x3ff, v31
	s_waitcnt lgkmcnt(0)
	s_cmp_lt_u32 s12, s4
	s_cselect_b32 s5, 12, 18
	s_add_u32 s6, s8, s5
	s_addc_u32 s7, s9, 0
	global_load_ushort v12, v1, s[6:7]
	flat_load_dwordx4 v[8:11], v[2:3]
	s_waitcnt vmcnt(0)
	v_mul_lo_u32 v0, s12, v12
	s_waitcnt lgkmcnt(0)
	v_sub_co_u32_e32 v10, vcc, v10, v8
	v_subb_co_u32_e32 v11, vcc, v11, v9, vcc
	v_add_u32_e32 v0, v0, v4
	v_cmp_gt_i64_e32 vcc, v[10:11], v[0:1]
	s_and_saveexec_b64 s[6:7], vcc
	s_cbranch_execz .LBB12_3
; %bb.1:
	flat_load_dwordx2 v[14:15], v[2:3] offset:32
	flat_load_dwordx4 v[4:7], v[2:3] offset:16
	s_load_dword s5, s[8:9], 0x10
	v_add_co_u32_e32 v8, vcc, v8, v0
	v_addc_co_u32_e32 v9, vcc, 0, v9, vcc
	s_waitcnt lgkmcnt(0)
	s_lshr_b32 s5, s5, 16
	s_cmp_lg_u32 s5, 0
	s_cselect_b64 s[8:9], -1, 0
	s_cmp_lg_u64 s[8:9], 0
	s_addc_u32 s4, s4, 0
	v_mul_lo_u32 v2, s4, v12
	v_lshlrev_b64 v[16:17], 2, v[8:9]
	v_lshlrev_b64 v[18:19], 3, v[8:9]
	v_mov_b32_e32 v3, v1
	v_lshlrev_b64 v[8:9], 2, v[2:3]
	v_lshlrev_b64 v[12:13], 3, v[2:3]
	s_mov_b64 s[8:9], 0
	s_waitcnt vmcnt(0)
	v_add_co_u32_e32 v14, vcc, v14, v16
	v_addc_co_u32_e32 v15, vcc, v15, v17, vcc
	v_add_co_u32_e32 v3, vcc, v4, v18
	v_addc_co_u32_e32 v4, vcc, v5, v19, vcc
.LBB12_2:                               ; =>This Inner Loop Header: Depth=1
	flat_load_dword v16, v[14:15]
	flat_load_dwordx2 v[18:19], v[3:4]
	s_waitcnt vmcnt(0) lgkmcnt(0)
	v_ashrrev_i32_e32 v17, 31, v16
	v_lshlrev_b64 v[16:17], 3, v[16:17]
	v_add_co_u32_e32 v16, vcc, v6, v16
	v_addc_co_u32_e32 v17, vcc, v7, v17, vcc
	v_add_co_u32_e32 v0, vcc, v0, v2
	v_addc_co_u32_e32 v1, vcc, 0, v1, vcc
	;; [unrolled: 2-line block ×3, first 2 shown]
	v_cmp_ge_i64_e64 s[4:5], v[0:1], v[10:11]
	v_add_co_u32_e32 v3, vcc, v3, v12
	s_or_b64 s[8:9], s[4:5], s[8:9]
	v_addc_co_u32_e32 v4, vcc, v4, v13, vcc
	flat_store_dwordx2 v[16:17], v[18:19]
	s_andn2_b64 exec, exec, s[8:9]
	s_cbranch_execnz .LBB12_2
.LBB12_3:
	s_or_b64 exec, exec, s[6:7]
	s_waitcnt vmcnt(0) lgkmcnt(0)
	s_setpc_b64 s[30:31]
.Lfunc_end12:
	.size	_ZNK4RAJA6detail10DispatcherILN4camp9resources2v18PlatformE8ENS_6policy9workgroup34indirect_virtual_function_dispatchENS6_3hip8hip_workILm1024ELb1EEEJEE16device_impl_typeINS0_29HoldHipDeviceXThreadblockLoopINS_17TypedRangeSegmentIllEEN8rajaperf4comm9HALO_base8UnPackerElJEEEE6invokeENS0_29DispatcherVoidConstPtrWrapperISB_EE, .Lfunc_end12-_ZNK4RAJA6detail10DispatcherILN4camp9resources2v18PlatformE8ENS_6policy9workgroup34indirect_virtual_function_dispatchENS6_3hip8hip_workILm1024ELb1EEEJEE16device_impl_typeINS0_29HoldHipDeviceXThreadblockLoopINS_17TypedRangeSegmentIllEEN8rajaperf4comm9HALO_base8UnPackerElJEEEE6invokeENS0_29DispatcherVoidConstPtrWrapperISB_EE
                                        ; -- End function
	.set .L_ZNK4RAJA6detail10DispatcherILN4camp9resources2v18PlatformE8ENS_6policy9workgroup34indirect_virtual_function_dispatchENS6_3hip8hip_workILm1024ELb1EEEJEE16device_impl_typeINS0_29HoldHipDeviceXThreadblockLoopINS_17TypedRangeSegmentIllEEN8rajaperf4comm9HALO_base8UnPackerElJEEEE6invokeENS0_29DispatcherVoidConstPtrWrapperISB_EE.num_vgpr, 32
	.set .L_ZNK4RAJA6detail10DispatcherILN4camp9resources2v18PlatformE8ENS_6policy9workgroup34indirect_virtual_function_dispatchENS6_3hip8hip_workILm1024ELb1EEEJEE16device_impl_typeINS0_29HoldHipDeviceXThreadblockLoopINS_17TypedRangeSegmentIllEEN8rajaperf4comm9HALO_base8UnPackerElJEEEE6invokeENS0_29DispatcherVoidConstPtrWrapperISB_EE.num_agpr, 0
	.set .L_ZNK4RAJA6detail10DispatcherILN4camp9resources2v18PlatformE8ENS_6policy9workgroup34indirect_virtual_function_dispatchENS6_3hip8hip_workILm1024ELb1EEEJEE16device_impl_typeINS0_29HoldHipDeviceXThreadblockLoopINS_17TypedRangeSegmentIllEEN8rajaperf4comm9HALO_base8UnPackerElJEEEE6invokeENS0_29DispatcherVoidConstPtrWrapperISB_EE.numbered_sgpr, 32
	.set .L_ZNK4RAJA6detail10DispatcherILN4camp9resources2v18PlatformE8ENS_6policy9workgroup34indirect_virtual_function_dispatchENS6_3hip8hip_workILm1024ELb1EEEJEE16device_impl_typeINS0_29HoldHipDeviceXThreadblockLoopINS_17TypedRangeSegmentIllEEN8rajaperf4comm9HALO_base8UnPackerElJEEEE6invokeENS0_29DispatcherVoidConstPtrWrapperISB_EE.num_named_barrier, 0
	.set .L_ZNK4RAJA6detail10DispatcherILN4camp9resources2v18PlatformE8ENS_6policy9workgroup34indirect_virtual_function_dispatchENS6_3hip8hip_workILm1024ELb1EEEJEE16device_impl_typeINS0_29HoldHipDeviceXThreadblockLoopINS_17TypedRangeSegmentIllEEN8rajaperf4comm9HALO_base8UnPackerElJEEEE6invokeENS0_29DispatcherVoidConstPtrWrapperISB_EE.private_seg_size, 0
	.set .L_ZNK4RAJA6detail10DispatcherILN4camp9resources2v18PlatformE8ENS_6policy9workgroup34indirect_virtual_function_dispatchENS6_3hip8hip_workILm1024ELb1EEEJEE16device_impl_typeINS0_29HoldHipDeviceXThreadblockLoopINS_17TypedRangeSegmentIllEEN8rajaperf4comm9HALO_base8UnPackerElJEEEE6invokeENS0_29DispatcherVoidConstPtrWrapperISB_EE.uses_vcc, 1
	.set .L_ZNK4RAJA6detail10DispatcherILN4camp9resources2v18PlatformE8ENS_6policy9workgroup34indirect_virtual_function_dispatchENS6_3hip8hip_workILm1024ELb1EEEJEE16device_impl_typeINS0_29HoldHipDeviceXThreadblockLoopINS_17TypedRangeSegmentIllEEN8rajaperf4comm9HALO_base8UnPackerElJEEEE6invokeENS0_29DispatcherVoidConstPtrWrapperISB_EE.uses_flat_scratch, 0
	.set .L_ZNK4RAJA6detail10DispatcherILN4camp9resources2v18PlatformE8ENS_6policy9workgroup34indirect_virtual_function_dispatchENS6_3hip8hip_workILm1024ELb1EEEJEE16device_impl_typeINS0_29HoldHipDeviceXThreadblockLoopINS_17TypedRangeSegmentIllEEN8rajaperf4comm9HALO_base8UnPackerElJEEEE6invokeENS0_29DispatcherVoidConstPtrWrapperISB_EE.has_dyn_sized_stack, 0
	.set .L_ZNK4RAJA6detail10DispatcherILN4camp9resources2v18PlatformE8ENS_6policy9workgroup34indirect_virtual_function_dispatchENS6_3hip8hip_workILm1024ELb1EEEJEE16device_impl_typeINS0_29HoldHipDeviceXThreadblockLoopINS_17TypedRangeSegmentIllEEN8rajaperf4comm9HALO_base8UnPackerElJEEEE6invokeENS0_29DispatcherVoidConstPtrWrapperISB_EE.has_recursion, 0
	.set .L_ZNK4RAJA6detail10DispatcherILN4camp9resources2v18PlatformE8ENS_6policy9workgroup34indirect_virtual_function_dispatchENS6_3hip8hip_workILm1024ELb1EEEJEE16device_impl_typeINS0_29HoldHipDeviceXThreadblockLoopINS_17TypedRangeSegmentIllEEN8rajaperf4comm9HALO_base8UnPackerElJEEEE6invokeENS0_29DispatcherVoidConstPtrWrapperISB_EE.has_indirect_call, 0
	.section	.AMDGPU.csdata,"",@progbits
; Function info:
; codeLenInByte = 328
; TotalNumSgprs: 36
; NumVgprs: 32
; ScratchSize: 0
; MemoryBound: 0
	.section	.AMDGPU.gpr_maximums,"",@progbits
	.set amdgpu.max_num_vgpr, 32
	.set amdgpu.max_num_agpr, 0
	.set amdgpu.max_num_sgpr, 32
	.section	.AMDGPU.csdata,"",@progbits
	.hidden	_ZZN4RAJA6detail10DispatcherILN4camp9resources2v18PlatformE8ENS_6policy9workgroup34indirect_virtual_function_dispatchENS6_3hip8hip_workILm1024ELb1EEEJEE21DeviceImplTypeFactoryINS0_29HoldHipDeviceXThreadblockLoopINS_17TypedRangeSegmentIllEEN8rajaperf4comm9HALO_base6PackerElJEEEEclEvE13s_device_impl ; @_ZZN4RAJA6detail10DispatcherILN4camp9resources2v18PlatformE8ENS_6policy9workgroup34indirect_virtual_function_dispatchENS6_3hip8hip_workILm1024ELb1EEEJEE21DeviceImplTypeFactoryINS0_29HoldHipDeviceXThreadblockLoopINS_17TypedRangeSegmentIllEEN8rajaperf4comm9HALO_base6PackerElJEEEEclEvE13s_device_impl
	.type	_ZZN4RAJA6detail10DispatcherILN4camp9resources2v18PlatformE8ENS_6policy9workgroup34indirect_virtual_function_dispatchENS6_3hip8hip_workILm1024ELb1EEEJEE21DeviceImplTypeFactoryINS0_29HoldHipDeviceXThreadblockLoopINS_17TypedRangeSegmentIllEEN8rajaperf4comm9HALO_base6PackerElJEEEEclEvE13s_device_impl,@object
	.section	.data._ZZN4RAJA6detail10DispatcherILN4camp9resources2v18PlatformE8ENS_6policy9workgroup34indirect_virtual_function_dispatchENS6_3hip8hip_workILm1024ELb1EEEJEE21DeviceImplTypeFactoryINS0_29HoldHipDeviceXThreadblockLoopINS_17TypedRangeSegmentIllEEN8rajaperf4comm9HALO_base6PackerElJEEEEclEvE13s_device_impl,"awG",@progbits,_ZZN4RAJA6detail10DispatcherILN4camp9resources2v18PlatformE8ENS_6policy9workgroup34indirect_virtual_function_dispatchENS6_3hip8hip_workILm1024ELb1EEEJEE21DeviceImplTypeFactoryINS0_29HoldHipDeviceXThreadblockLoopINS_17TypedRangeSegmentIllEEN8rajaperf4comm9HALO_base6PackerElJEEEEclEvE13s_device_impl,comdat
	.weak	_ZZN4RAJA6detail10DispatcherILN4camp9resources2v18PlatformE8ENS_6policy9workgroup34indirect_virtual_function_dispatchENS6_3hip8hip_workILm1024ELb1EEEJEE21DeviceImplTypeFactoryINS0_29HoldHipDeviceXThreadblockLoopINS_17TypedRangeSegmentIllEEN8rajaperf4comm9HALO_base6PackerElJEEEEclEvE13s_device_impl
	.p2align	3, 0x0
_ZZN4RAJA6detail10DispatcherILN4camp9resources2v18PlatformE8ENS_6policy9workgroup34indirect_virtual_function_dispatchENS6_3hip8hip_workILm1024ELb1EEEJEE21DeviceImplTypeFactoryINS0_29HoldHipDeviceXThreadblockLoopINS_17TypedRangeSegmentIllEEN8rajaperf4comm9HALO_base6PackerElJEEEEclEvE13s_device_impl:
	.quad	_ZTVN4RAJA6detail10DispatcherILN4camp9resources2v18PlatformE8ENS_6policy9workgroup34indirect_virtual_function_dispatchENS6_3hip8hip_workILm1024ELb1EEEJEE16device_impl_typeINS0_29HoldHipDeviceXThreadblockLoopINS_17TypedRangeSegmentIllEEN8rajaperf4comm9HALO_base6PackerElJEEEEE+16
	.size	_ZZN4RAJA6detail10DispatcherILN4camp9resources2v18PlatformE8ENS_6policy9workgroup34indirect_virtual_function_dispatchENS6_3hip8hip_workILm1024ELb1EEEJEE21DeviceImplTypeFactoryINS0_29HoldHipDeviceXThreadblockLoopINS_17TypedRangeSegmentIllEEN8rajaperf4comm9HALO_base6PackerElJEEEEclEvE13s_device_impl, 8

	.hidden	_ZTVN4RAJA6detail10DispatcherILN4camp9resources2v18PlatformE8ENS_6policy9workgroup34indirect_virtual_function_dispatchENS6_3hip8hip_workILm1024ELb1EEEJEE16device_impl_typeINS0_29HoldHipDeviceXThreadblockLoopINS_17TypedRangeSegmentIllEEN8rajaperf4comm9HALO_base6PackerElJEEEEE ; @_ZTVN4RAJA6detail10DispatcherILN4camp9resources2v18PlatformE8ENS_6policy9workgroup34indirect_virtual_function_dispatchENS6_3hip8hip_workILm1024ELb1EEEJEE16device_impl_typeINS0_29HoldHipDeviceXThreadblockLoopINS_17TypedRangeSegmentIllEEN8rajaperf4comm9HALO_base6PackerElJEEEEE
	.type	_ZTVN4RAJA6detail10DispatcherILN4camp9resources2v18PlatformE8ENS_6policy9workgroup34indirect_virtual_function_dispatchENS6_3hip8hip_workILm1024ELb1EEEJEE16device_impl_typeINS0_29HoldHipDeviceXThreadblockLoopINS_17TypedRangeSegmentIllEEN8rajaperf4comm9HALO_base6PackerElJEEEEE,@object
	.section	.data.rel.ro._ZTVN4RAJA6detail10DispatcherILN4camp9resources2v18PlatformE8ENS_6policy9workgroup34indirect_virtual_function_dispatchENS6_3hip8hip_workILm1024ELb1EEEJEE16device_impl_typeINS0_29HoldHipDeviceXThreadblockLoopINS_17TypedRangeSegmentIllEEN8rajaperf4comm9HALO_base6PackerElJEEEEE,"awG",@progbits,_ZTVN4RAJA6detail10DispatcherILN4camp9resources2v18PlatformE8ENS_6policy9workgroup34indirect_virtual_function_dispatchENS6_3hip8hip_workILm1024ELb1EEEJEE16device_impl_typeINS0_29HoldHipDeviceXThreadblockLoopINS_17TypedRangeSegmentIllEEN8rajaperf4comm9HALO_base6PackerElJEEEEE,comdat
	.weak	_ZTVN4RAJA6detail10DispatcherILN4camp9resources2v18PlatformE8ENS_6policy9workgroup34indirect_virtual_function_dispatchENS6_3hip8hip_workILm1024ELb1EEEJEE16device_impl_typeINS0_29HoldHipDeviceXThreadblockLoopINS_17TypedRangeSegmentIllEEN8rajaperf4comm9HALO_base6PackerElJEEEEE
	.p2align	3, 0x0
_ZTVN4RAJA6detail10DispatcherILN4camp9resources2v18PlatformE8ENS_6policy9workgroup34indirect_virtual_function_dispatchENS6_3hip8hip_workILm1024ELb1EEEJEE16device_impl_typeINS0_29HoldHipDeviceXThreadblockLoopINS_17TypedRangeSegmentIllEEN8rajaperf4comm9HALO_base6PackerElJEEEEE:
	.quad	0
	.quad	0
	.quad	_ZNK4RAJA6detail10DispatcherILN4camp9resources2v18PlatformE8ENS_6policy9workgroup34indirect_virtual_function_dispatchENS6_3hip8hip_workILm1024ELb1EEEJEE16device_impl_typeINS0_29HoldHipDeviceXThreadblockLoopINS_17TypedRangeSegmentIllEEN8rajaperf4comm9HALO_base6PackerElJEEEE6invokeENS0_29DispatcherVoidConstPtrWrapperISB_EE
	.size	_ZTVN4RAJA6detail10DispatcherILN4camp9resources2v18PlatformE8ENS_6policy9workgroup34indirect_virtual_function_dispatchENS6_3hip8hip_workILm1024ELb1EEEJEE16device_impl_typeINS0_29HoldHipDeviceXThreadblockLoopINS_17TypedRangeSegmentIllEEN8rajaperf4comm9HALO_base6PackerElJEEEEE, 24

	.hidden	_ZZN4RAJA6detail10DispatcherILN4camp9resources2v18PlatformE8ENS_6policy9workgroup34indirect_virtual_function_dispatchENS6_3hip8hip_workILm1024ELb1EEEJEE21DeviceImplTypeFactoryINS0_29HoldHipDeviceXThreadblockLoopINS_17TypedRangeSegmentIllEEN8rajaperf4comm9HALO_base8UnPackerElJEEEEclEvE13s_device_impl ; @_ZZN4RAJA6detail10DispatcherILN4camp9resources2v18PlatformE8ENS_6policy9workgroup34indirect_virtual_function_dispatchENS6_3hip8hip_workILm1024ELb1EEEJEE21DeviceImplTypeFactoryINS0_29HoldHipDeviceXThreadblockLoopINS_17TypedRangeSegmentIllEEN8rajaperf4comm9HALO_base8UnPackerElJEEEEclEvE13s_device_impl
	.type	_ZZN4RAJA6detail10DispatcherILN4camp9resources2v18PlatformE8ENS_6policy9workgroup34indirect_virtual_function_dispatchENS6_3hip8hip_workILm1024ELb1EEEJEE21DeviceImplTypeFactoryINS0_29HoldHipDeviceXThreadblockLoopINS_17TypedRangeSegmentIllEEN8rajaperf4comm9HALO_base8UnPackerElJEEEEclEvE13s_device_impl,@object
	.section	.data._ZZN4RAJA6detail10DispatcherILN4camp9resources2v18PlatformE8ENS_6policy9workgroup34indirect_virtual_function_dispatchENS6_3hip8hip_workILm1024ELb1EEEJEE21DeviceImplTypeFactoryINS0_29HoldHipDeviceXThreadblockLoopINS_17TypedRangeSegmentIllEEN8rajaperf4comm9HALO_base8UnPackerElJEEEEclEvE13s_device_impl,"awG",@progbits,_ZZN4RAJA6detail10DispatcherILN4camp9resources2v18PlatformE8ENS_6policy9workgroup34indirect_virtual_function_dispatchENS6_3hip8hip_workILm1024ELb1EEEJEE21DeviceImplTypeFactoryINS0_29HoldHipDeviceXThreadblockLoopINS_17TypedRangeSegmentIllEEN8rajaperf4comm9HALO_base8UnPackerElJEEEEclEvE13s_device_impl,comdat
	.weak	_ZZN4RAJA6detail10DispatcherILN4camp9resources2v18PlatformE8ENS_6policy9workgroup34indirect_virtual_function_dispatchENS6_3hip8hip_workILm1024ELb1EEEJEE21DeviceImplTypeFactoryINS0_29HoldHipDeviceXThreadblockLoopINS_17TypedRangeSegmentIllEEN8rajaperf4comm9HALO_base8UnPackerElJEEEEclEvE13s_device_impl
	.p2align	3, 0x0
_ZZN4RAJA6detail10DispatcherILN4camp9resources2v18PlatformE8ENS_6policy9workgroup34indirect_virtual_function_dispatchENS6_3hip8hip_workILm1024ELb1EEEJEE21DeviceImplTypeFactoryINS0_29HoldHipDeviceXThreadblockLoopINS_17TypedRangeSegmentIllEEN8rajaperf4comm9HALO_base8UnPackerElJEEEEclEvE13s_device_impl:
	.quad	_ZTVN4RAJA6detail10DispatcherILN4camp9resources2v18PlatformE8ENS_6policy9workgroup34indirect_virtual_function_dispatchENS6_3hip8hip_workILm1024ELb1EEEJEE16device_impl_typeINS0_29HoldHipDeviceXThreadblockLoopINS_17TypedRangeSegmentIllEEN8rajaperf4comm9HALO_base8UnPackerElJEEEEE+16
	.size	_ZZN4RAJA6detail10DispatcherILN4camp9resources2v18PlatformE8ENS_6policy9workgroup34indirect_virtual_function_dispatchENS6_3hip8hip_workILm1024ELb1EEEJEE21DeviceImplTypeFactoryINS0_29HoldHipDeviceXThreadblockLoopINS_17TypedRangeSegmentIllEEN8rajaperf4comm9HALO_base8UnPackerElJEEEEclEvE13s_device_impl, 8

	.hidden	_ZTVN4RAJA6detail10DispatcherILN4camp9resources2v18PlatformE8ENS_6policy9workgroup34indirect_virtual_function_dispatchENS6_3hip8hip_workILm1024ELb1EEEJEE16device_impl_typeINS0_29HoldHipDeviceXThreadblockLoopINS_17TypedRangeSegmentIllEEN8rajaperf4comm9HALO_base8UnPackerElJEEEEE ; @_ZTVN4RAJA6detail10DispatcherILN4camp9resources2v18PlatformE8ENS_6policy9workgroup34indirect_virtual_function_dispatchENS6_3hip8hip_workILm1024ELb1EEEJEE16device_impl_typeINS0_29HoldHipDeviceXThreadblockLoopINS_17TypedRangeSegmentIllEEN8rajaperf4comm9HALO_base8UnPackerElJEEEEE
	.type	_ZTVN4RAJA6detail10DispatcherILN4camp9resources2v18PlatformE8ENS_6policy9workgroup34indirect_virtual_function_dispatchENS6_3hip8hip_workILm1024ELb1EEEJEE16device_impl_typeINS0_29HoldHipDeviceXThreadblockLoopINS_17TypedRangeSegmentIllEEN8rajaperf4comm9HALO_base8UnPackerElJEEEEE,@object
	.section	.data.rel.ro._ZTVN4RAJA6detail10DispatcherILN4camp9resources2v18PlatformE8ENS_6policy9workgroup34indirect_virtual_function_dispatchENS6_3hip8hip_workILm1024ELb1EEEJEE16device_impl_typeINS0_29HoldHipDeviceXThreadblockLoopINS_17TypedRangeSegmentIllEEN8rajaperf4comm9HALO_base8UnPackerElJEEEEE,"awG",@progbits,_ZTVN4RAJA6detail10DispatcherILN4camp9resources2v18PlatformE8ENS_6policy9workgroup34indirect_virtual_function_dispatchENS6_3hip8hip_workILm1024ELb1EEEJEE16device_impl_typeINS0_29HoldHipDeviceXThreadblockLoopINS_17TypedRangeSegmentIllEEN8rajaperf4comm9HALO_base8UnPackerElJEEEEE,comdat
	.weak	_ZTVN4RAJA6detail10DispatcherILN4camp9resources2v18PlatformE8ENS_6policy9workgroup34indirect_virtual_function_dispatchENS6_3hip8hip_workILm1024ELb1EEEJEE16device_impl_typeINS0_29HoldHipDeviceXThreadblockLoopINS_17TypedRangeSegmentIllEEN8rajaperf4comm9HALO_base8UnPackerElJEEEEE
	.p2align	3, 0x0
_ZTVN4RAJA6detail10DispatcherILN4camp9resources2v18PlatformE8ENS_6policy9workgroup34indirect_virtual_function_dispatchENS6_3hip8hip_workILm1024ELb1EEEJEE16device_impl_typeINS0_29HoldHipDeviceXThreadblockLoopINS_17TypedRangeSegmentIllEEN8rajaperf4comm9HALO_base8UnPackerElJEEEEE:
	.quad	0
	.quad	0
	.quad	_ZNK4RAJA6detail10DispatcherILN4camp9resources2v18PlatformE8ENS_6policy9workgroup34indirect_virtual_function_dispatchENS6_3hip8hip_workILm1024ELb1EEEJEE16device_impl_typeINS0_29HoldHipDeviceXThreadblockLoopINS_17TypedRangeSegmentIllEEN8rajaperf4comm9HALO_base8UnPackerElJEEEE6invokeENS0_29DispatcherVoidConstPtrWrapperISB_EE
	.size	_ZTVN4RAJA6detail10DispatcherILN4camp9resources2v18PlatformE8ENS_6policy9workgroup34indirect_virtual_function_dispatchENS6_3hip8hip_workILm1024ELb1EEEJEE16device_impl_typeINS0_29HoldHipDeviceXThreadblockLoopINS_17TypedRangeSegmentIllEEN8rajaperf4comm9HALO_base8UnPackerElJEEEEE, 24

	.type	__hip_cuid_16ef5025d574f2e2,@object ; @__hip_cuid_16ef5025d574f2e2
	.section	.bss,"aw",@nobits
	.globl	__hip_cuid_16ef5025d574f2e2
__hip_cuid_16ef5025d574f2e2:
	.byte	0                               ; 0x0
	.size	__hip_cuid_16ef5025d574f2e2, 1

	.ident	"AMD clang version 22.0.0git (https://github.com/RadeonOpenCompute/llvm-project roc-7.2.4 26084 f58b06dce1f9c15707c5f808fd002e18c2accf7e)"
	.section	".note.GNU-stack","",@progbits
	.addrsig
	.addrsig_sym _ZN4RAJA6detail10DispatcherILN4camp9resources2v18PlatformE8ENS_6policy9workgroup31indirect_function_call_dispatchENS6_3hip8hip_workILm1024ELb1EEEJEE15s_device_invokeINS0_29HoldHipDeviceXThreadblockLoopINS_17TypedRangeSegmentIllEEN8rajaperf4comm9HALO_base6PackerElJEEEEEvNS0_29DispatcherVoidConstPtrWrapperISB_EE
	.addrsig_sym _ZN4RAJA6detail10DispatcherILN4camp9resources2v18PlatformE8ENS_6policy9workgroup31indirect_function_call_dispatchENS6_3hip8hip_workILm1024ELb1EEEJEE15s_device_invokeINS0_29HoldHipDeviceXThreadblockLoopINS_17TypedRangeSegmentIllEEN8rajaperf4comm9HALO_base8UnPackerElJEEEEEvNS0_29DispatcherVoidConstPtrWrapperISB_EE
	.addrsig_sym _ZZN4RAJA6detail10DispatcherILN4camp9resources2v18PlatformE8ENS_6policy9workgroup34indirect_virtual_function_dispatchENS6_3hip8hip_workILm1024ELb1EEEJEE21DeviceImplTypeFactoryINS0_29HoldHipDeviceXThreadblockLoopINS_17TypedRangeSegmentIllEEN8rajaperf4comm9HALO_base6PackerElJEEEEclEvE13s_device_impl
	.addrsig_sym _ZZN4RAJA6detail10DispatcherILN4camp9resources2v18PlatformE8ENS_6policy9workgroup34indirect_virtual_function_dispatchENS6_3hip8hip_workILm1024ELb1EEEJEE21DeviceImplTypeFactoryINS0_29HoldHipDeviceXThreadblockLoopINS_17TypedRangeSegmentIllEEN8rajaperf4comm9HALO_base8UnPackerElJEEEEclEvE13s_device_impl
	.addrsig_sym __hip_cuid_16ef5025d574f2e2
	.amdgpu_metadata
---
amdhsa.kernels:
  - .args:
      - .address_space:  global
        .offset:         0
        .size:           8
        .value_kind:     global_buffer
      - .address_space:  global
        .offset:         8
        .size:           8
        .value_kind:     global_buffer
      - .address_space:  global
        .offset:         16
        .size:           8
        .value_kind:     global_buffer
      - .address_space:  global
        .offset:         24
        .size:           8
        .value_kind:     global_buffer
      - .offset:         32
        .size:           4
        .value_kind:     hidden_block_count_x
      - .offset:         36
        .size:           4
        .value_kind:     hidden_block_count_y
      - .offset:         40
        .size:           4
        .value_kind:     hidden_block_count_z
      - .offset:         44
        .size:           2
        .value_kind:     hidden_group_size_x
      - .offset:         46
        .size:           2
        .value_kind:     hidden_group_size_y
      - .offset:         48
        .size:           2
        .value_kind:     hidden_group_size_z
      - .offset:         50
        .size:           2
        .value_kind:     hidden_remainder_x
      - .offset:         52
        .size:           2
        .value_kind:     hidden_remainder_y
      - .offset:         54
        .size:           2
        .value_kind:     hidden_remainder_z
      - .offset:         72
        .size:           8
        .value_kind:     hidden_global_offset_x
      - .offset:         80
        .size:           8
        .value_kind:     hidden_global_offset_y
      - .offset:         88
        .size:           8
        .value_kind:     hidden_global_offset_z
      - .offset:         96
        .size:           2
        .value_kind:     hidden_grid_dims
    .group_segment_fixed_size: 0
    .kernarg_segment_align: 8
    .kernarg_segment_size: 288
    .language:       OpenCL C
    .language_version:
      - 2
      - 0
    .max_flat_workgroup_size: 1024
    .name:           _ZN8rajaperf4comm23halo_packing_fused_packILm1024EEEvPPdPPiS3_Pl
    .private_segment_fixed_size: 0
    .sgpr_count:     22
    .sgpr_spill_count: 0
    .symbol:         _ZN8rajaperf4comm23halo_packing_fused_packILm1024EEEvPPdPPiS3_Pl.kd
    .uniform_work_group_size: 1
    .uses_dynamic_stack: false
    .vgpr_count:     12
    .vgpr_spill_count: 0
    .wavefront_size: 64
  - .args:
      - .address_space:  global
        .offset:         0
        .size:           8
        .value_kind:     global_buffer
      - .address_space:  global
        .offset:         8
        .size:           8
        .value_kind:     global_buffer
      - .address_space:  global
        .offset:         16
        .size:           8
        .value_kind:     global_buffer
      - .address_space:  global
        .offset:         24
        .size:           8
        .value_kind:     global_buffer
      - .offset:         32
        .size:           4
        .value_kind:     hidden_block_count_x
      - .offset:         36
        .size:           4
        .value_kind:     hidden_block_count_y
      - .offset:         40
        .size:           4
        .value_kind:     hidden_block_count_z
      - .offset:         44
        .size:           2
        .value_kind:     hidden_group_size_x
      - .offset:         46
        .size:           2
        .value_kind:     hidden_group_size_y
      - .offset:         48
        .size:           2
        .value_kind:     hidden_group_size_z
      - .offset:         50
        .size:           2
        .value_kind:     hidden_remainder_x
      - .offset:         52
        .size:           2
        .value_kind:     hidden_remainder_y
      - .offset:         54
        .size:           2
        .value_kind:     hidden_remainder_z
      - .offset:         72
        .size:           8
        .value_kind:     hidden_global_offset_x
      - .offset:         80
        .size:           8
        .value_kind:     hidden_global_offset_y
      - .offset:         88
        .size:           8
        .value_kind:     hidden_global_offset_z
      - .offset:         96
        .size:           2
        .value_kind:     hidden_grid_dims
    .group_segment_fixed_size: 0
    .kernarg_segment_align: 8
    .kernarg_segment_size: 288
    .language:       OpenCL C
    .language_version:
      - 2
      - 0
    .max_flat_workgroup_size: 1024
    .name:           _ZN8rajaperf4comm25halo_packing_fused_unpackILm1024EEEvPPdPPiS3_Pl
    .private_segment_fixed_size: 0
    .sgpr_count:     22
    .sgpr_spill_count: 0
    .symbol:         _ZN8rajaperf4comm25halo_packing_fused_unpackILm1024EEEvPPdPPiS3_Pl.kd
    .uniform_work_group_size: 1
    .uses_dynamic_stack: false
    .vgpr_count:     14
    .vgpr_spill_count: 0
    .wavefront_size: 64
  - .args:
      - .offset:         0
        .size:           16
        .value_kind:     by_value
      - .offset:         16
        .size:           4
        .value_kind:     hidden_block_count_x
      - .offset:         20
        .size:           4
        .value_kind:     hidden_block_count_y
      - .offset:         24
        .size:           4
        .value_kind:     hidden_block_count_z
      - .offset:         28
        .size:           2
        .value_kind:     hidden_group_size_x
      - .offset:         30
        .size:           2
        .value_kind:     hidden_group_size_y
      - .offset:         32
        .size:           2
        .value_kind:     hidden_group_size_z
      - .offset:         34
        .size:           2
        .value_kind:     hidden_remainder_x
      - .offset:         36
        .size:           2
        .value_kind:     hidden_remainder_y
      - .offset:         38
        .size:           2
        .value_kind:     hidden_remainder_z
      - .offset:         56
        .size:           8
        .value_kind:     hidden_global_offset_x
      - .offset:         64
        .size:           8
        .value_kind:     hidden_global_offset_y
      - .offset:         72
        .size:           8
        .value_kind:     hidden_global_offset_z
      - .offset:         80
        .size:           2
        .value_kind:     hidden_grid_dims
    .group_segment_fixed_size: 0
    .kernarg_segment_align: 8
    .kernarg_segment_size: 272
    .language:       OpenCL C
    .language_version:
      - 2
      - 0
    .max_flat_workgroup_size: 1024
    .name:           _ZN4RAJA6detail28hip_unordered_y_block_globalILm1024ENS0_22random_access_iteratorINS0_11WorkStorageINS_6policy9workgroup32constant_stride_array_of_objectsEN8rajaperf23RAJAPoolAllocatorHolderINS_13basic_mempool7MemPoolINS_3hip15PinnedAllocatorEEEE9AllocatorIcEENS0_10DispatcherILN4camp9resources2v18PlatformE8ENS5_15direct_dispatchIJNS0_29HoldHipDeviceXThreadblockLoopINS_17TypedRangeSegmentIllEENS7_4comm9HALO_base6PackerElJEEENSN_ISP_NSR_8UnPackerElJEEEEEENS4_3hip8hip_workILm1024ELb1EEEJEEEE19const_iterator_baseEEENS0_10WorkStructILm16ES10_EElJEEEvT0_DpT3_
    .private_segment_fixed_size: 0
    .sgpr_count:     22
    .sgpr_spill_count: 0
    .symbol:         _ZN4RAJA6detail28hip_unordered_y_block_globalILm1024ENS0_22random_access_iteratorINS0_11WorkStorageINS_6policy9workgroup32constant_stride_array_of_objectsEN8rajaperf23RAJAPoolAllocatorHolderINS_13basic_mempool7MemPoolINS_3hip15PinnedAllocatorEEEE9AllocatorIcEENS0_10DispatcherILN4camp9resources2v18PlatformE8ENS5_15direct_dispatchIJNS0_29HoldHipDeviceXThreadblockLoopINS_17TypedRangeSegmentIllEENS7_4comm9HALO_base6PackerElJEEENSN_ISP_NSR_8UnPackerElJEEEEEENS4_3hip8hip_workILm1024ELb1EEEJEEEE19const_iterator_baseEEENS0_10WorkStructILm16ES10_EElJEEEvT0_DpT3_.kd
    .uniform_work_group_size: 1
    .uses_dynamic_stack: false
    .vgpr_count:     17
    .vgpr_spill_count: 0
    .wavefront_size: 64
  - .args:
      - .address_space:  global
        .offset:         0
        .size:           8
        .value_kind:     global_buffer
      - .offset:         8
        .size:           1
        .value_kind:     by_value
    .group_segment_fixed_size: 0
    .kernarg_segment_align: 8
    .kernarg_segment_size: 12
    .language:       OpenCL C
    .language_version:
      - 2
      - 0
    .max_flat_workgroup_size: 1024
    .name:           _ZN4RAJA6detail3hip16get_value_globalINS0_10DispatcherILN4camp9resources2v18PlatformE8ENS_6policy9workgroup31indirect_function_call_dispatchENS8_3hip8hip_workILm1024ELb1EEEJEE20DeviceInvokerFactoryINS0_29HoldHipDeviceXThreadblockLoopINS_17TypedRangeSegmentIllEEN8rajaperf4comm9HALO_base6PackerElJEEEEEEEvPNT_10value_typeESP_
    .private_segment_fixed_size: 0
    .sgpr_count:     10
    .sgpr_spill_count: 0
    .symbol:         _ZN4RAJA6detail3hip16get_value_globalINS0_10DispatcherILN4camp9resources2v18PlatformE8ENS_6policy9workgroup31indirect_function_call_dispatchENS8_3hip8hip_workILm1024ELb1EEEJEE20DeviceInvokerFactoryINS0_29HoldHipDeviceXThreadblockLoopINS_17TypedRangeSegmentIllEEN8rajaperf4comm9HALO_base6PackerElJEEEEEEEvPNT_10value_typeESP_.kd
    .uniform_work_group_size: 1
    .uses_dynamic_stack: false
    .vgpr_count:     3
    .vgpr_spill_count: 0
    .wavefront_size: 64
  - .args:
      - .offset:         0
        .size:           16
        .value_kind:     by_value
      - .offset:         16
        .size:           4
        .value_kind:     hidden_block_count_x
      - .offset:         20
        .size:           4
        .value_kind:     hidden_block_count_y
      - .offset:         24
        .size:           4
        .value_kind:     hidden_block_count_z
      - .offset:         28
        .size:           2
        .value_kind:     hidden_group_size_x
      - .offset:         30
        .size:           2
        .value_kind:     hidden_group_size_y
      - .offset:         32
        .size:           2
        .value_kind:     hidden_group_size_z
      - .offset:         34
        .size:           2
        .value_kind:     hidden_remainder_x
      - .offset:         36
        .size:           2
        .value_kind:     hidden_remainder_y
      - .offset:         38
        .size:           2
        .value_kind:     hidden_remainder_z
      - .offset:         56
        .size:           8
        .value_kind:     hidden_global_offset_x
      - .offset:         64
        .size:           8
        .value_kind:     hidden_global_offset_y
      - .offset:         72
        .size:           8
        .value_kind:     hidden_global_offset_z
      - .offset:         80
        .size:           2
        .value_kind:     hidden_grid_dims
      - .offset:         96
        .size:           8
        .value_kind:     hidden_hostcall_buffer
      - .offset:         104
        .size:           8
        .value_kind:     hidden_multigrid_sync_arg
      - .offset:         112
        .size:           8
        .value_kind:     hidden_heap_v1
      - .offset:         120
        .size:           8
        .value_kind:     hidden_default_queue
      - .offset:         128
        .size:           8
        .value_kind:     hidden_completion_action
      - .offset:         216
        .size:           8
        .value_kind:     hidden_queue_ptr
    .group_segment_fixed_size: 0
    .kernarg_segment_align: 8
    .kernarg_segment_size: 272
    .language:       OpenCL C
    .language_version:
      - 2
      - 0
    .max_flat_workgroup_size: 1024
    .name:           _ZN4RAJA6detail28hip_unordered_y_block_globalILm1024ENS0_22random_access_iteratorINS0_11WorkStorageINS_6policy9workgroup32constant_stride_array_of_objectsEN8rajaperf23RAJAPoolAllocatorHolderINS_13basic_mempool7MemPoolINS_3hip15PinnedAllocatorEEEE9AllocatorIcEENS0_10DispatcherILN4camp9resources2v18PlatformE8ENS5_31indirect_function_call_dispatchENS4_3hip8hip_workILm1024ELb1EEEJEEEE19const_iterator_baseEEENS0_10WorkStructILm16ESQ_EElJEEEvT0_DpT3_
    .private_segment_fixed_size: 0
    .sgpr_count:     39
    .sgpr_spill_count: 0
    .symbol:         _ZN4RAJA6detail28hip_unordered_y_block_globalILm1024ENS0_22random_access_iteratorINS0_11WorkStorageINS_6policy9workgroup32constant_stride_array_of_objectsEN8rajaperf23RAJAPoolAllocatorHolderINS_13basic_mempool7MemPoolINS_3hip15PinnedAllocatorEEEE9AllocatorIcEENS0_10DispatcherILN4camp9resources2v18PlatformE8ENS5_31indirect_function_call_dispatchENS4_3hip8hip_workILm1024ELb1EEEJEEEE19const_iterator_baseEEENS0_10WorkStructILm16ESQ_EElJEEEvT0_DpT3_.kd
    .uniform_work_group_size: 1
    .uses_dynamic_stack: true
    .vgpr_count:     32
    .vgpr_spill_count: 0
    .wavefront_size: 64
  - .args:
      - .address_space:  global
        .offset:         0
        .size:           8
        .value_kind:     global_buffer
      - .offset:         8
        .size:           1
        .value_kind:     by_value
    .group_segment_fixed_size: 0
    .kernarg_segment_align: 8
    .kernarg_segment_size: 12
    .language:       OpenCL C
    .language_version:
      - 2
      - 0
    .max_flat_workgroup_size: 1024
    .name:           _ZN4RAJA6detail3hip16get_value_globalINS0_10DispatcherILN4camp9resources2v18PlatformE8ENS_6policy9workgroup31indirect_function_call_dispatchENS8_3hip8hip_workILm1024ELb1EEEJEE20DeviceInvokerFactoryINS0_29HoldHipDeviceXThreadblockLoopINS_17TypedRangeSegmentIllEEN8rajaperf4comm9HALO_base8UnPackerElJEEEEEEEvPNT_10value_typeESP_
    .private_segment_fixed_size: 0
    .sgpr_count:     10
    .sgpr_spill_count: 0
    .symbol:         _ZN4RAJA6detail3hip16get_value_globalINS0_10DispatcherILN4camp9resources2v18PlatformE8ENS_6policy9workgroup31indirect_function_call_dispatchENS8_3hip8hip_workILm1024ELb1EEEJEE20DeviceInvokerFactoryINS0_29HoldHipDeviceXThreadblockLoopINS_17TypedRangeSegmentIllEEN8rajaperf4comm9HALO_base8UnPackerElJEEEEEEEvPNT_10value_typeESP_.kd
    .uniform_work_group_size: 1
    .uses_dynamic_stack: false
    .vgpr_count:     3
    .vgpr_spill_count: 0
    .wavefront_size: 64
  - .args:
      - .address_space:  global
        .offset:         0
        .size:           8
        .value_kind:     global_buffer
      - .offset:         8
        .size:           1
        .value_kind:     by_value
    .group_segment_fixed_size: 0
    .kernarg_segment_align: 8
    .kernarg_segment_size: 12
    .language:       OpenCL C
    .language_version:
      - 2
      - 0
    .max_flat_workgroup_size: 1024
    .name:           _ZN4RAJA6detail3hip16get_value_globalINS0_10DispatcherILN4camp9resources2v18PlatformE8ENS_6policy9workgroup34indirect_virtual_function_dispatchENS8_3hip8hip_workILm1024ELb1EEEJEE21DeviceImplTypeFactoryINS0_29HoldHipDeviceXThreadblockLoopINS_17TypedRangeSegmentIllEEN8rajaperf4comm9HALO_base6PackerElJEEEEEEEvPNT_10value_typeESP_
    .private_segment_fixed_size: 0
    .sgpr_count:     10
    .sgpr_spill_count: 0
    .symbol:         _ZN4RAJA6detail3hip16get_value_globalINS0_10DispatcherILN4camp9resources2v18PlatformE8ENS_6policy9workgroup34indirect_virtual_function_dispatchENS8_3hip8hip_workILm1024ELb1EEEJEE21DeviceImplTypeFactoryINS0_29HoldHipDeviceXThreadblockLoopINS_17TypedRangeSegmentIllEEN8rajaperf4comm9HALO_base6PackerElJEEEEEEEvPNT_10value_typeESP_.kd
    .uniform_work_group_size: 1
    .uses_dynamic_stack: false
    .vgpr_count:     3
    .vgpr_spill_count: 0
    .wavefront_size: 64
  - .args:
      - .offset:         0
        .size:           16
        .value_kind:     by_value
      - .offset:         16
        .size:           4
        .value_kind:     hidden_block_count_x
      - .offset:         20
        .size:           4
        .value_kind:     hidden_block_count_y
      - .offset:         24
        .size:           4
        .value_kind:     hidden_block_count_z
      - .offset:         28
        .size:           2
        .value_kind:     hidden_group_size_x
      - .offset:         30
        .size:           2
        .value_kind:     hidden_group_size_y
      - .offset:         32
        .size:           2
        .value_kind:     hidden_group_size_z
      - .offset:         34
        .size:           2
        .value_kind:     hidden_remainder_x
      - .offset:         36
        .size:           2
        .value_kind:     hidden_remainder_y
      - .offset:         38
        .size:           2
        .value_kind:     hidden_remainder_z
      - .offset:         56
        .size:           8
        .value_kind:     hidden_global_offset_x
      - .offset:         64
        .size:           8
        .value_kind:     hidden_global_offset_y
      - .offset:         72
        .size:           8
        .value_kind:     hidden_global_offset_z
      - .offset:         80
        .size:           2
        .value_kind:     hidden_grid_dims
      - .offset:         96
        .size:           8
        .value_kind:     hidden_hostcall_buffer
      - .offset:         104
        .size:           8
        .value_kind:     hidden_multigrid_sync_arg
      - .offset:         112
        .size:           8
        .value_kind:     hidden_heap_v1
      - .offset:         120
        .size:           8
        .value_kind:     hidden_default_queue
      - .offset:         128
        .size:           8
        .value_kind:     hidden_completion_action
      - .offset:         216
        .size:           8
        .value_kind:     hidden_queue_ptr
    .group_segment_fixed_size: 0
    .kernarg_segment_align: 8
    .kernarg_segment_size: 272
    .language:       OpenCL C
    .language_version:
      - 2
      - 0
    .max_flat_workgroup_size: 1024
    .name:           _ZN4RAJA6detail28hip_unordered_y_block_globalILm1024ENS0_22random_access_iteratorINS0_11WorkStorageINS_6policy9workgroup32constant_stride_array_of_objectsEN8rajaperf23RAJAPoolAllocatorHolderINS_13basic_mempool7MemPoolINS_3hip15PinnedAllocatorEEEE9AllocatorIcEENS0_10DispatcherILN4camp9resources2v18PlatformE8ENS5_34indirect_virtual_function_dispatchENS4_3hip8hip_workILm1024ELb1EEEJEEEE19const_iterator_baseEEENS0_10WorkStructILm16ESQ_EElJEEEvT0_DpT3_
    .private_segment_fixed_size: 0
    .sgpr_count:     72
    .sgpr_spill_count: 0
    .symbol:         _ZN4RAJA6detail28hip_unordered_y_block_globalILm1024ENS0_22random_access_iteratorINS0_11WorkStorageINS_6policy9workgroup32constant_stride_array_of_objectsEN8rajaperf23RAJAPoolAllocatorHolderINS_13basic_mempool7MemPoolINS_3hip15PinnedAllocatorEEEE9AllocatorIcEENS0_10DispatcherILN4camp9resources2v18PlatformE8ENS5_34indirect_virtual_function_dispatchENS4_3hip8hip_workILm1024ELb1EEEJEEEE19const_iterator_baseEEENS0_10WorkStructILm16ESQ_EElJEEEvT0_DpT3_.kd
    .uniform_work_group_size: 1
    .uses_dynamic_stack: true
    .vgpr_count:     32
    .vgpr_spill_count: 0
    .wavefront_size: 64
  - .args:
      - .address_space:  global
        .offset:         0
        .size:           8
        .value_kind:     global_buffer
      - .offset:         8
        .size:           1
        .value_kind:     by_value
    .group_segment_fixed_size: 0
    .kernarg_segment_align: 8
    .kernarg_segment_size: 12
    .language:       OpenCL C
    .language_version:
      - 2
      - 0
    .max_flat_workgroup_size: 1024
    .name:           _ZN4RAJA6detail3hip16get_value_globalINS0_10DispatcherILN4camp9resources2v18PlatformE8ENS_6policy9workgroup34indirect_virtual_function_dispatchENS8_3hip8hip_workILm1024ELb1EEEJEE21DeviceImplTypeFactoryINS0_29HoldHipDeviceXThreadblockLoopINS_17TypedRangeSegmentIllEEN8rajaperf4comm9HALO_base8UnPackerElJEEEEEEEvPNT_10value_typeESP_
    .private_segment_fixed_size: 0
    .sgpr_count:     10
    .sgpr_spill_count: 0
    .symbol:         _ZN4RAJA6detail3hip16get_value_globalINS0_10DispatcherILN4camp9resources2v18PlatformE8ENS_6policy9workgroup34indirect_virtual_function_dispatchENS8_3hip8hip_workILm1024ELb1EEEJEE21DeviceImplTypeFactoryINS0_29HoldHipDeviceXThreadblockLoopINS_17TypedRangeSegmentIllEEN8rajaperf4comm9HALO_base8UnPackerElJEEEEEEEvPNT_10value_typeESP_.kd
    .uniform_work_group_size: 1
    .uses_dynamic_stack: false
    .vgpr_count:     3
    .vgpr_spill_count: 0
    .wavefront_size: 64
amdhsa.target:   amdgcn-amd-amdhsa--gfx906
amdhsa.version:
  - 1
  - 2
...

	.end_amdgpu_metadata
